;; amdgpu-corpus repo=ROCm/rocFFT kind=compiled arch=gfx1201 opt=O3
	.text
	.amdgcn_target "amdgcn-amd-amdhsa--gfx1201"
	.amdhsa_code_object_version 6
	.protected	bluestein_single_fwd_len702_dim1_dp_op_CI_CI ; -- Begin function bluestein_single_fwd_len702_dim1_dp_op_CI_CI
	.globl	bluestein_single_fwd_len702_dim1_dp_op_CI_CI
	.p2align	8
	.type	bluestein_single_fwd_len702_dim1_dp_op_CI_CI,@function
bluestein_single_fwd_len702_dim1_dp_op_CI_CI: ; @bluestein_single_fwd_len702_dim1_dp_op_CI_CI
; %bb.0:
	s_load_b128 s[8:11], s[0:1], 0x28
	v_mul_u32_u24_e32 v1, 0x231, v0
	s_mov_b32 s2, exec_lo
	v_mov_b32_e32 v105, 0
	s_delay_alu instid0(VALU_DEP_2) | instskip(NEXT) | instid1(VALU_DEP_1)
	v_lshrrev_b32_e32 v1, 16, v1
	v_add_nc_u32_e32 v104, ttmp9, v1
	s_wait_kmcnt 0x0
	s_delay_alu instid0(VALU_DEP_1)
	v_cmpx_gt_u64_e64 s[8:9], v[104:105]
	s_cbranch_execz .LBB0_15
; %bb.1:
	s_clause 0x1
	s_load_b64 s[8:9], s[0:1], 0x0
	s_load_b64 s[12:13], s[0:1], 0x38
	v_mul_lo_u16 v1, 0x75, v1
	s_delay_alu instid0(VALU_DEP_1) | instskip(NEXT) | instid1(VALU_DEP_1)
	v_sub_nc_u16 v0, v0, v1
	v_and_b32_e32 v226, 0xffff, v0
	v_cmp_gt_u16_e32 vcc_lo, 54, v0
	s_delay_alu instid0(VALU_DEP_2)
	v_lshlrev_b32_e32 v225, 4, v226
	s_and_saveexec_b32 s3, vcc_lo
	s_cbranch_execz .LBB0_3
; %bb.2:
	s_load_b64 s[4:5], s[0:1], 0x18
	s_wait_kmcnt 0x0
	s_load_b128 s[4:7], s[4:5], 0x0
	s_wait_kmcnt 0x0
	v_mad_co_u64_u32 v[16:17], null, s4, v226, 0
	v_mad_co_u64_u32 v[0:1], null, s6, v104, 0
	s_delay_alu instid0(VALU_DEP_2) | instskip(NEXT) | instid1(VALU_DEP_1)
	v_mov_b32_e32 v2, v17
	v_mad_co_u64_u32 v[3:4], null, s7, v104, v[1:2]
	s_delay_alu instid0(VALU_DEP_1) | instskip(SKIP_2) | instid1(VALU_DEP_2)
	v_mov_b32_e32 v1, v3
	v_mad_co_u64_u32 v[4:5], null, s5, v226, v[2:3]
	s_mul_u64 s[4:5], s[4:5], 0x360
	v_lshlrev_b64_e32 v[18:19], 4, v[0:1]
	s_delay_alu instid0(VALU_DEP_2)
	v_mov_b32_e32 v17, v4
	s_clause 0x3
	global_load_b128 v[0:3], v225, s[8:9]
	global_load_b128 v[4:7], v225, s[8:9] offset:864
	global_load_b128 v[8:11], v225, s[8:9] offset:1728
	;; [unrolled: 1-line block ×3, first 2 shown]
	v_add_co_u32 v26, s2, s10, v18
	s_delay_alu instid0(VALU_DEP_1)
	v_add_co_ci_u32_e64 v27, s2, s11, v19, s2
	v_lshlrev_b64_e32 v[24:25], 4, v[16:17]
	s_clause 0x1
	global_load_b128 v[16:19], v225, s[8:9] offset:3456
	global_load_b128 v[20:23], v225, s[8:9] offset:4320
	v_add_co_u32 v40, s2, v26, v24
	s_wait_alu 0xf1ff
	v_add_co_ci_u32_e64 v41, s2, v27, v25, s2
	s_clause 0x1
	global_load_b128 v[24:27], v225, s[8:9] offset:5184
	global_load_b128 v[28:31], v225, s[8:9] offset:6048
	s_wait_alu 0xfffe
	v_add_co_u32 v44, s2, v40, s4
	s_wait_alu 0xf1ff
	v_add_co_ci_u32_e64 v45, s2, s5, v41, s2
	s_clause 0x1
	global_load_b128 v[32:35], v225, s[8:9] offset:6912
	global_load_b128 v[36:39], v225, s[8:9] offset:7776
	v_add_co_u32 v48, s2, v44, s4
	s_wait_alu 0xf1ff
	v_add_co_ci_u32_e64 v49, s2, s5, v45, s2
	s_clause 0x1
	global_load_b128 v[40:43], v[40:41], off
	global_load_b128 v[44:47], v[44:45], off
	v_add_co_u32 v52, s2, v48, s4
	s_wait_alu 0xf1ff
	v_add_co_ci_u32_e64 v53, s2, s5, v49, s2
	s_delay_alu instid0(VALU_DEP_2) | instskip(SKIP_1) | instid1(VALU_DEP_2)
	v_add_co_u32 v56, s2, v52, s4
	s_wait_alu 0xf1ff
	v_add_co_ci_u32_e64 v57, s2, s5, v53, s2
	s_clause 0x1
	global_load_b128 v[48:51], v[48:49], off
	global_load_b128 v[52:55], v[52:53], off
	v_add_co_u32 v60, s2, v56, s4
	s_wait_alu 0xf1ff
	v_add_co_ci_u32_e64 v61, s2, s5, v57, s2
	global_load_b128 v[56:59], v[56:57], off
	v_add_co_u32 v64, s2, v60, s4
	s_wait_alu 0xf1ff
	v_add_co_ci_u32_e64 v65, s2, s5, v61, s2
	global_load_b128 v[60:63], v[60:61], off
	v_add_co_u32 v68, s2, v64, s4
	s_wait_alu 0xf1ff
	v_add_co_ci_u32_e64 v69, s2, s5, v65, s2
	global_load_b128 v[64:67], v[64:65], off
	v_add_co_u32 v72, s2, v68, s4
	s_wait_alu 0xf1ff
	v_add_co_ci_u32_e64 v73, s2, s5, v69, s2
	global_load_b128 v[68:71], v[68:69], off
	v_add_co_u32 v76, s2, v72, s4
	s_wait_alu 0xf1ff
	v_add_co_ci_u32_e64 v77, s2, s5, v73, s2
	global_load_b128 v[72:75], v[72:73], off
	v_add_co_u32 v80, s2, v76, s4
	s_wait_alu 0xf1ff
	v_add_co_ci_u32_e64 v81, s2, s5, v77, s2
	global_load_b128 v[76:79], v[76:77], off
	v_add_co_u32 v92, s2, v80, s4
	s_wait_alu 0xf1ff
	v_add_co_ci_u32_e64 v93, s2, s5, v81, s2
	global_load_b128 v[80:83], v[80:81], off
	v_add_co_u32 v100, s2, v92, s4
	s_wait_alu 0xf1ff
	v_add_co_ci_u32_e64 v101, s2, s5, v93, s2
	s_clause 0x1
	global_load_b128 v[84:87], v225, s[8:9] offset:8640
	global_load_b128 v[88:91], v225, s[8:9] offset:9504
	global_load_b128 v[92:95], v[92:93], off
	global_load_b128 v[96:99], v225, s[8:9] offset:10368
	global_load_b128 v[100:103], v[100:101], off
	s_wait_loadcnt 0xf
	v_mul_f64_e32 v[105:106], v[42:43], v[2:3]
	v_mul_f64_e32 v[2:3], v[40:41], v[2:3]
	s_wait_loadcnt 0xe
	v_mul_f64_e32 v[107:108], v[46:47], v[6:7]
	v_mul_f64_e32 v[6:7], v[44:45], v[6:7]
	;; [unrolled: 3-line block ×10, first 2 shown]
	v_fma_f64 v[38:39], v[40:41], v[0:1], v[105:106]
	v_fma_f64 v[40:41], v[42:43], v[0:1], -v[2:3]
	v_fma_f64 v[0:1], v[44:45], v[4:5], v[107:108]
	v_fma_f64 v[2:3], v[46:47], v[4:5], -v[6:7]
	s_wait_loadcnt 0x4
	v_mul_f64_e32 v[127:128], v[82:83], v[86:87]
	v_mul_f64_e32 v[86:87], v[80:81], v[86:87]
	s_wait_loadcnt 0x2
	v_mul_f64_e32 v[129:130], v[94:95], v[90:91]
	v_mul_f64_e32 v[90:91], v[92:93], v[90:91]
	;; [unrolled: 3-line block ×3, first 2 shown]
	v_fma_f64 v[4:5], v[48:49], v[8:9], v[109:110]
	v_fma_f64 v[6:7], v[50:51], v[8:9], -v[10:11]
	v_fma_f64 v[8:9], v[52:53], v[12:13], v[111:112]
	v_fma_f64 v[10:11], v[54:55], v[12:13], -v[14:15]
	;; [unrolled: 2-line block ×11, first 2 shown]
	ds_store_b128 v225, v[38:41]
	ds_store_b128 v225, v[0:3] offset:864
	ds_store_b128 v225, v[4:7] offset:1728
	;; [unrolled: 1-line block ×12, first 2 shown]
.LBB0_3:
	s_or_b32 exec_lo, exec_lo, s3
	s_clause 0x1
	s_load_b64 s[2:3], s[0:1], 0x20
	s_load_b64 s[4:5], s[0:1], 0x8
	global_wb scope:SCOPE_SE
	s_wait_dscnt 0x0
	s_wait_kmcnt 0x0
	s_barrier_signal -1
	s_barrier_wait -1
	global_inv scope:SCOPE_SE
                                        ; implicit-def: $vgpr4_vgpr5
                                        ; implicit-def: $vgpr36_vgpr37
                                        ; implicit-def: $vgpr48_vgpr49
                                        ; implicit-def: $vgpr56_vgpr57
                                        ; implicit-def: $vgpr68_vgpr69
                                        ; implicit-def: $vgpr72_vgpr73
                                        ; implicit-def: $vgpr60_vgpr61
                                        ; implicit-def: $vgpr40_vgpr41
                                        ; implicit-def: $vgpr32_vgpr33
                                        ; implicit-def: $vgpr24_vgpr25
                                        ; implicit-def: $vgpr16_vgpr17
                                        ; implicit-def: $vgpr8_vgpr9
                                        ; implicit-def: $vgpr12_vgpr13
	s_and_saveexec_b32 s0, vcc_lo
	s_cbranch_execz .LBB0_5
; %bb.4:
	ds_load_b128 v[4:7], v225
	ds_load_b128 v[36:39], v225 offset:864
	ds_load_b128 v[48:51], v225 offset:1728
	;; [unrolled: 1-line block ×12, first 2 shown]
.LBB0_5:
	s_wait_alu 0xfffe
	s_or_b32 exec_lo, exec_lo, s0
	s_wait_dscnt 0x0
	v_add_f64_e64 v[2:3], v[38:39], -v[14:15]
	v_add_f64_e64 v[0:1], v[36:37], -v[12:13]
	s_mov_b32 s21, 0xbfddbe06
	s_mov_b32 s20, 0x4267c47c
	v_add_f64_e32 v[80:81], v[36:37], v[12:13]
	v_add_f64_e32 v[82:83], v[38:39], v[14:15]
	v_add_f64_e64 v[20:21], v[50:51], -v[10:11]
	v_add_f64_e64 v[22:23], v[48:49], -v[8:9]
	s_mov_b32 s0, 0xe00740e9
	s_mov_b32 s22, 0x42a4c3d2
	;; [unrolled: 1-line block ×4, first 2 shown]
	v_add_f64_e32 v[88:89], v[48:49], v[8:9]
	v_add_f64_e32 v[90:91], v[50:51], v[10:11]
	v_add_f64_e64 v[28:29], v[58:59], -v[18:19]
	v_add_f64_e64 v[30:31], v[56:57], -v[16:17]
	s_mov_b32 s6, 0x1ea71119
	s_mov_b32 s26, 0x66966769
	;; [unrolled: 1-line block ×10, first 2 shown]
	v_add_f64_e32 v[96:97], v[56:57], v[16:17]
	v_add_f64_e32 v[98:99], v[58:59], v[18:19]
	v_add_f64_e64 v[52:53], v[70:71], -v[26:27]
	v_add_f64_e64 v[54:55], v[68:69], -v[24:25]
	s_mov_b32 s10, 0xebaa3ed8
	s_mov_b32 s14, 0xb2365da1
	;; [unrolled: 1-line block ×8, first 2 shown]
	v_mul_f64_e32 v[44:45], s[20:21], v[2:3]
	v_mul_f64_e32 v[46:47], s[20:21], v[0:1]
	;; [unrolled: 1-line block ×16, first 2 shown]
	s_mov_b32 s41, 0x3fe5384d
	s_mov_b32 s35, 0x3fefc445
	;; [unrolled: 1-line block ×5, first 2 shown]
	v_add_f64_e32 v[100:101], v[68:69], v[24:25]
	v_add_f64_e32 v[102:103], v[70:71], v[26:27]
	v_add_f64_e64 v[64:65], v[74:75], -v[34:35]
	v_add_f64_e64 v[66:67], v[72:73], -v[32:33]
	v_mul_f64_e32 v[145:146], s[24:25], v[20:21]
	v_mul_f64_e32 v[151:152], s[24:25], v[22:23]
	;; [unrolled: 1-line block ×10, first 2 shown]
	s_wait_alu 0xfffe
	v_mul_f64_e32 v[20:21], s[20:21], v[20:21]
	v_mul_f64_e32 v[22:23], s[20:21], v[22:23]
	s_mov_b32 s43, 0x3fedeba7
	s_clause 0x1
	scratch_store_b64 off, v[44:45], off
	scratch_store_b64 off, v[46:47], off offset:8
	v_fma_f64 v[44:45], v[80:81], s[0:1], v[44:45]
	v_fma_f64 v[46:47], v[82:83], s[0:1], -v[46:47]
	v_fma_f64 v[147:148], v[80:81], s[6:7], v[94:95]
	v_fma_f64 v[181:182], v[80:81], s[10:11], v[121:122]
	s_clause 0x1
	scratch_store_b64 off, v[78:79], off offset:16
	scratch_store_b64 off, v[84:85], off offset:24
	v_fma_f64 v[78:79], v[88:89], s[6:7], v[78:79]
	v_fma_f64 v[131:132], v[90:91], s[6:7], -v[84:85]
	v_fma_f64 v[183:184], v[82:83], s[10:11], -v[125:126]
	v_fma_f64 v[185:186], v[80:81], s[14:15], v[133:134]
	v_fma_f64 v[187:188], v[82:83], s[14:15], -v[135:136]
	v_fma_f64 v[189:190], v[80:81], s[16:17], v[141:142]
	v_fma_f64 v[149:150], v[96:97], s[10:11], v[86:87]
	v_fma_f64 v[173:174], v[98:99], s[10:11], -v[92:93]
	v_fma_f64 v[191:192], v[82:83], s[16:17], -v[143:144]
	;; [unrolled: 1-line block ×3, first 2 shown]
	v_fma_f64 v[197:198], v[82:83], s[18:19], v[0:1]
	v_fma_f64 v[2:3], v[80:81], s[18:19], v[2:3]
	v_fma_f64 v[0:1], v[82:83], s[18:19], -v[0:1]
	s_mov_b32 s42, s24
	v_add_f64_e32 v[105:106], v[72:73], v[32:33]
	v_add_f64_e64 v[76:77], v[62:63], -v[42:43]
	v_add_f64_e32 v[107:108], v[74:75], v[34:35]
	v_add_f64_e64 v[227:228], v[60:61], -v[40:41]
	v_mul_f64_e32 v[127:128], s[28:29], v[64:65]
	v_mul_f64_e32 v[129:130], s[28:29], v[66:67]
	;; [unrolled: 1-line block ×3, first 2 shown]
	v_fma_f64 v[199:200], v[88:89], s[14:15], v[145:146]
	v_mul_f64_e32 v[167:168], s[30:31], v[30:31]
	v_mul_f64_e32 v[169:170], s[42:43], v[28:29]
	;; [unrolled: 1-line block ×8, first 2 shown]
	v_fma_f64 v[28:29], v[100:101], s[14:15], v[137:138]
	v_fma_f64 v[207:208], v[102:103], s[14:15], -v[139:140]
	v_add_f64_e32 v[44:45], v[4:5], v[44:45]
	v_add_f64_e32 v[46:47], v[6:7], v[46:47]
	;; [unrolled: 1-line block ×3, first 2 shown]
	v_mul_f64_e32 v[193:194], s[20:21], v[30:31]
	v_fma_f64 v[30:31], v[90:91], s[14:15], -v[151:152]
	v_fma_f64 v[209:210], v[88:89], s[18:19], v[153:154]
	v_add_f64_e32 v[211:212], v[4:5], v[181:182]
	v_fma_f64 v[213:214], v[90:91], s[18:19], -v[155:156]
	v_add_f64_e32 v[215:216], v[6:7], v[183:184]
	v_fma_f64 v[217:218], v[88:89], s[16:17], v[157:158]
	v_add_f64_e32 v[185:186], v[4:5], v[185:186]
	v_fma_f64 v[219:220], v[90:91], s[16:17], -v[159:160]
	v_add_f64_e32 v[221:222], v[6:7], v[187:188]
	;; [unrolled: 4-line block ×3, first 2 shown]
	v_fma_f64 v[233:234], v[88:89], s[0:1], -v[20:21]
	v_add_f64_e32 v[235:236], v[4:5], v[195:196]
	v_fma_f64 v[237:238], v[90:91], s[0:1], v[22:23]
	v_add_f64_e32 v[197:198], v[6:7], v[197:198]
	v_fma_f64 v[20:21], v[88:89], s[0:1], v[20:21]
	v_add_f64_e32 v[2:3], v[4:5], v[2:3]
	v_fma_f64 v[22:23], v[90:91], s[0:1], -v[22:23]
	v_add_f64_e32 v[0:1], v[6:7], v[0:1]
	s_mov_b32 s39, 0x3fcea1e5
	s_mov_b32 s37, 0x3fea55e2
	;; [unrolled: 1-line block ×4, first 2 shown]
	v_add_f64_e32 v[113:114], v[60:61], v[40:41]
	v_add_f64_e32 v[119:120], v[62:63], v[42:43]
	v_mul_f64_e32 v[123:124], s[30:31], v[76:77]
	v_mul_f64_e32 v[147:148], s[40:41], v[52:53]
	v_fma_f64 v[239:240], v[96:97], s[18:19], v[163:164]
	v_mul_f64_e32 v[181:182], s[26:27], v[52:53]
	v_mul_f64_e32 v[183:184], s[26:27], v[54:55]
	v_mul_f64_e32 v[189:190], s[38:39], v[52:53]
	v_mul_f64_e32 v[195:196], s[38:39], v[54:55]
	v_add_f64_e32 v[44:45], v[78:79], v[44:45]
	v_add_f64_e32 v[46:47], v[131:132], v[46:47]
	v_fma_f64 v[78:79], v[82:83], s[6:7], -v[117:118]
	v_mul_f64_e32 v[131:132], s[30:31], v[227:228]
	v_add_f64_e32 v[199:200], v[199:200], v[201:202]
	v_mul_f64_e32 v[241:242], s[36:37], v[52:53]
	v_mul_f64_e32 v[243:244], s[36:37], v[54:55]
	v_mul_f64_e32 v[187:188], s[20:21], v[52:53]
	v_fma_f64 v[52:53], v[105:106], s[16:17], v[127:128]
	v_fma_f64 v[245:246], v[107:108], s[16:17], -v[129:130]
	v_mul_f64_e32 v[201:202], s[20:21], v[54:55]
	v_fma_f64 v[247:248], v[96:97], s[16:17], -v[203:204]
	v_add_f64_e32 v[219:220], v[219:220], v[221:222]
	v_fma_f64 v[221:222], v[96:97], s[6:7], v[175:176]
	v_add_f64_e32 v[223:224], v[223:224], v[229:230]
	v_fma_f64 v[229:230], v[98:99], s[6:7], -v[179:180]
	v_add_f64_e32 v[231:232], v[231:232], v[191:192]
	v_fma_f64 v[249:250], v[96:97], s[16:17], v[203:204]
	v_add_f64_e32 v[233:234], v[233:234], v[235:236]
	v_fma_f64 v[235:236], v[98:99], s[16:17], v[205:206]
	v_add_f64_e32 v[237:238], v[237:238], v[197:198]
	s_clause 0x1
	scratch_store_b64 off, v[86:87], off offset:32
	scratch_store_b64 off, v[92:93], off offset:40
	v_add_f64_e32 v[2:3], v[20:21], v[2:3]
	v_fma_f64 v[20:21], v[98:99], s[16:17], -v[205:206]
	v_add_f64_e32 v[0:1], v[22:23], v[0:1]
	scratch_store_b64 off, v[94:95], off offset:48 ; 8-byte Folded Spill
	v_mul_f64_e32 v[191:192], s[22:23], v[64:65]
	v_mul_f64_e32 v[197:198], s[22:23], v[66:67]
	;; [unrolled: 1-line block ×5, first 2 shown]
	v_fma_f64 v[22:23], v[100:101], s[16:17], v[147:148]
	global_wb scope:SCOPE_SE
	s_wait_storecnt 0x0
	v_fma_f64 v[84:85], v[100:101], s[10:11], v[181:182]
	v_fma_f64 v[92:93], v[102:103], s[10:11], -v[183:184]
	v_fma_f64 v[109:110], v[100:101], s[18:19], v[189:190]
	v_fma_f64 v[115:116], v[102:103], s[18:19], -v[195:196]
	v_add_f64_e32 v[44:45], v[149:150], v[44:45]
	v_add_f64_e32 v[46:47], v[173:174], v[46:47]
	v_add_f64_e32 v[78:79], v[6:7], v[78:79]
	v_mul_f64_e32 v[173:174], s[40:41], v[54:55]
	v_fma_f64 v[54:55], v[96:97], s[14:15], v[169:170]
	v_mul_f64_e32 v[149:150], s[34:35], v[64:65]
	v_add_f64_e32 v[239:240], v[239:240], v[199:200]
	v_mul_f64_e32 v[199:200], s[38:39], v[64:65]
	v_fma_f64 v[64:65], v[113:114], s[18:19], v[123:124]
	v_fma_f64 v[253:254], v[119:120], s[18:19], -v[131:132]
	s_barrier_signal -1
	s_barrier_wait -1
	global_inv scope:SCOPE_SE
	v_add_f64_e32 v[111:112], v[221:222], v[223:224]
	v_mul_f64_e32 v[223:224], s[24:25], v[227:228]
	v_add_f64_e32 v[229:230], v[229:230], v[231:232]
	v_fma_f64 v[231:232], v[100:101], s[6:7], -v[241:242]
	v_add_f64_e32 v[233:234], v[247:248], v[233:234]
	v_fma_f64 v[247:248], v[102:103], s[6:7], v[243:244]
	v_add_f64_e32 v[235:236], v[235:236], v[237:238]
	v_fma_f64 v[237:238], v[100:101], s[6:7], v[241:242]
	v_fma_f64 v[243:244], v[102:103], s[6:7], -v[243:244]
	v_add_f64_e32 v[241:242], v[249:250], v[2:3]
	v_mul_f64_e32 v[221:222], s[20:21], v[227:228]
	v_add_f64_e32 v[20:21], v[20:21], v[0:1]
	v_add_f64_e32 v[28:29], v[28:29], v[44:45]
	;; [unrolled: 1-line block ×3, first 2 shown]
	v_fma_f64 v[46:47], v[98:99], s[18:19], -v[167:168]
	v_add_f64_e32 v[30:31], v[30:31], v[78:79]
	v_add_f64_e32 v[78:79], v[209:210], v[211:212]
	v_fma_f64 v[209:210], v[98:99], s[14:15], -v[171:172]
	v_add_f64_e32 v[211:212], v[213:214], v[215:216]
	v_fma_f64 v[213:214], v[96:97], s[0:1], v[177:178]
	v_add_f64_e32 v[215:216], v[217:218], v[185:186]
	v_fma_f64 v[217:218], v[98:99], s[0:1], -v[193:194]
	v_mul_f64_e32 v[185:186], s[34:35], v[66:67]
	v_mul_f64_e32 v[207:208], s[20:21], v[66:67]
	;; [unrolled: 1-line block ×3, first 2 shown]
	v_fma_f64 v[249:250], v[105:106], s[10:11], v[149:150]
	v_add_f64_e32 v[22:23], v[22:23], v[239:240]
	v_add_f64_e32 v[20:21], v[243:244], v[20:21]
	;; [unrolled: 1-line block ×4, first 2 shown]
	v_fma_f64 v[52:53], v[102:103], s[16:17], -v[173:174]
	v_add_f64_e32 v[30:31], v[46:47], v[30:31]
	v_fma_f64 v[46:47], v[100:101], s[0:1], v[187:188]
	v_add_f64_e32 v[54:55], v[54:55], v[78:79]
	v_fma_f64 v[78:79], v[102:103], s[0:1], -v[201:202]
	v_add_f64_e32 v[245:246], v[209:210], v[211:212]
	v_add_f64_e32 v[86:87], v[213:214], v[215:216]
	;; [unrolled: 1-line block ×3, first 2 shown]
	v_mul_f64_e32 v[209:210], s[28:29], v[76:77]
	v_mul_f64_e32 v[211:212], s[28:29], v[227:228]
	;; [unrolled: 1-line block ×8, first 2 shown]
	v_add_f64_e32 v[22:23], v[249:250], v[22:23]
	v_add_f64_e32 v[0:1], v[64:65], v[28:29]
	;; [unrolled: 1-line block ×3, first 2 shown]
	v_fma_f64 v[64:65], v[105:106], s[6:7], v[191:192]
	v_add_f64_e32 v[28:29], v[52:53], v[30:31]
	v_fma_f64 v[52:53], v[107:108], s[10:11], -v[185:186]
	v_add_f64_e32 v[30:31], v[46:47], v[54:55]
	v_add_f64_e32 v[44:45], v[78:79], v[245:246]
	;; [unrolled: 1-line block ×5, first 2 shown]
	v_fma_f64 v[84:85], v[107:108], s[6:7], -v[197:198]
	v_add_f64_e32 v[86:87], v[115:116], v[229:230]
	v_fma_f64 v[92:93], v[105:106], s[18:19], v[199:200]
	v_add_f64_e32 v[94:95], v[231:232], v[233:234]
	v_fma_f64 v[109:110], v[107:108], s[18:19], -v[203:204]
	v_add_f64_e32 v[111:112], v[247:248], v[235:236]
	v_fma_f64 v[115:116], v[105:106], s[0:1], v[205:206]
	v_add_f64_e32 v[229:230], v[237:238], v[241:242]
	v_fma_f64 v[231:232], v[107:108], s[0:1], -v[207:208]
	v_fma_f64 v[233:234], v[105:106], s[14:15], -v[251:252]
	v_fma_f64 v[235:236], v[107:108], s[14:15], v[66:67]
	v_fma_f64 v[237:238], v[105:106], s[14:15], v[251:252]
	v_fma_f64 v[66:67], v[107:108], s[14:15], -v[66:67]
	v_fma_f64 v[239:240], v[113:114], s[10:11], v[76:77]
	v_add_f64_e32 v[28:29], v[52:53], v[28:29]
	v_fma_f64 v[52:53], v[113:114], s[16:17], v[209:210]
	v_add_f64_e32 v[30:31], v[64:65], v[30:31]
	v_fma_f64 v[64:65], v[119:120], s[16:17], -v[211:212]
	v_add_f64_e32 v[44:45], v[84:85], v[44:45]
	v_fma_f64 v[84:85], v[113:114], s[6:7], v[213:214]
	v_add_f64_e32 v[46:47], v[92:93], v[46:47]
	v_fma_f64 v[92:93], v[119:120], s[6:7], -v[217:218]
	;; [unrolled: 4-line block ×4, first 2 shown]
	v_add_f64_e32 v[111:112], v[235:236], v[111:112]
	v_fma_f64 v[235:236], v[113:114], s[10:11], -v[76:77]
	v_add_f64_e32 v[229:230], v[237:238], v[229:230]
	v_fma_f64 v[237:238], v[119:120], s[10:11], v[227:228]
	v_fma_f64 v[227:228], v[119:120], s[10:11], -v[227:228]
	v_add_f64_e32 v[66:67], v[66:67], v[20:21]
	v_add_f64_e32 v[20:21], v[109:110], v[22:23]
	;; [unrolled: 1-line block ×13, first 2 shown]
	v_mul_lo_u16 v227, v226, 13
	s_and_saveexec_b32 s20, vcc_lo
	s_cbranch_execz .LBB0_7
; %bb.6:
	v_add_f64_e32 v[38:39], v[6:7], v[38:39]
	v_add_f64_e32 v[36:37], v[4:5], v[36:37]
	v_mul_f64_e32 v[228:229], s[14:15], v[88:89]
	v_mul_f64_e32 v[84:85], s[6:7], v[80:81]
	;; [unrolled: 1-line block ×8, first 2 shown]
	v_add_f64_e32 v[38:39], v[38:39], v[50:51]
	v_add_f64_e32 v[36:37], v[36:37], v[48:49]
	v_mul_f64_e32 v[48:49], s[16:17], v[82:83]
	v_mul_f64_e32 v[50:51], s[16:17], v[80:81]
	v_add_f64_e32 v[92:93], v[159:160], v[92:93]
	v_add_f64_e64 v[94:95], v[94:95], -v[157:158]
	v_add_f64_e32 v[109:110], v[155:156], v[109:110]
	v_add_f64_e32 v[115:116], v[151:152], v[115:116]
	v_add_f64_e64 v[86:87], v[86:87], -v[121:122]
	v_mul_f64_e32 v[121:122], s[18:19], v[98:99]
	v_add_f64_e64 v[111:112], v[111:112], -v[153:154]
	v_mul_f64_e32 v[151:152], s[0:1], v[102:103]
	v_mul_f64_e32 v[153:154], s[10:11], v[100:101]
	;; [unrolled: 1-line block ×3, first 2 shown]
	scratch_load_b64 v[157:158], off, off offset:40 th:TH_LOAD_LU ; 8-byte Folded Reload
	v_add_f64_e32 v[38:39], v[38:39], v[58:59]
	v_add_f64_e32 v[36:37], v[36:37], v[56:57]
	;; [unrolled: 1-line block ×3, first 2 shown]
	v_add_f64_e64 v[143:144], v[228:229], -v[145:146]
	scratch_load_b64 v[145:146], off, off offset:24 th:TH_LOAD_LU ; 8-byte Folded Reload
	v_mul_f64_e32 v[56:57], s[14:15], v[82:83]
	v_mul_f64_e32 v[58:59], s[14:15], v[80:81]
	v_add_f64_e64 v[50:51], v[50:51], -v[141:142]
	v_mul_f64_e32 v[141:142], s[0:1], v[98:99]
	v_add_f64_e32 v[86:87], v[4:5], v[86:87]
	v_add_f64_e32 v[121:122], v[167:168], v[121:122]
	;; [unrolled: 1-line block ×3, first 2 shown]
	v_mul_f64_e32 v[70:71], s[6:7], v[82:83]
	v_add_f64_e32 v[36:37], v[36:37], v[68:69]
	v_mul_f64_e32 v[68:69], s[10:11], v[82:83]
	v_mul_f64_e32 v[82:83], s[0:1], v[82:83]
	v_add_f64_e32 v[56:57], v[135:136], v[56:57]
	v_add_f64_e64 v[58:59], v[58:59], -v[133:134]
	v_mul_f64_e32 v[133:134], s[14:15], v[98:99]
	v_mul_f64_e32 v[135:136], s[0:1], v[96:97]
	v_add_f64_e32 v[48:49], v[6:7], v[48:49]
	v_add_f64_e32 v[50:51], v[4:5], v[50:51]
	;; [unrolled: 1-line block ×5, first 2 shown]
	scratch_load_b64 v[117:118], off, off offset:48 th:TH_LOAD_LU ; 8-byte Folded Reload
	v_add_f64_e32 v[36:37], v[36:37], v[72:73]
	v_mul_f64_e32 v[74:75], s[10:11], v[90:91]
	v_mul_f64_e32 v[90:91], s[6:7], v[90:91]
	;; [unrolled: 1-line block ×4, first 2 shown]
	v_add_f64_e32 v[68:69], v[125:126], v[68:69]
	v_mul_f64_e32 v[88:89], s[6:7], v[88:89]
	v_mul_f64_e32 v[125:126], s[14:15], v[96:97]
	v_add_f64_e32 v[56:57], v[6:7], v[56:57]
	v_add_f64_e32 v[58:59], v[4:5], v[58:59]
	;; [unrolled: 1-line block ×3, first 2 shown]
	v_add_f64_e64 v[135:136], v[135:136], -v[177:178]
	v_add_f64_e32 v[38:39], v[38:39], v[62:63]
	v_mul_f64_e32 v[62:63], s[10:11], v[96:97]
	v_add_f64_e32 v[70:71], v[6:7], v[70:71]
	v_add_f64_e32 v[36:37], v[36:37], v[60:61]
	;; [unrolled: 1-line block ×3, first 2 shown]
	v_add_f64_e64 v[80:81], v[80:81], -v[161:162]
	v_add_f64_e32 v[68:69], v[6:7], v[68:69]
	v_add_f64_e64 v[125:126], v[125:126], -v[169:170]
	v_add_f64_e32 v[56:57], v[92:93], v[56:57]
	v_add_f64_e32 v[58:59], v[94:95], v[58:59]
	v_mul_f64_e32 v[92:93], s[18:19], v[105:106]
	v_mul_f64_e32 v[94:95], s[18:19], v[107:108]
	v_add_f64_e32 v[38:39], v[38:39], v[42:43]
	v_mul_f64_e32 v[42:43], s[14:15], v[102:103]
	v_add_f64_e32 v[70:71], v[115:116], v[70:71]
	v_add_f64_e32 v[36:37], v[36:37], v[40:41]
	v_mul_f64_e32 v[40:41], s[14:15], v[100:101]
	v_add_f64_e32 v[48:49], v[74:75], v[48:49]
	v_add_f64_e32 v[115:116], v[201:202], v[151:152]
	;; [unrolled: 1-line block ×5, first 2 shown]
	v_mul_f64_e32 v[86:87], s[10:11], v[107:108]
	v_add_f64_e32 v[109:110], v[183:184], v[155:156]
	v_add_f64_e64 v[111:112], v[153:154], -v[181:182]
	v_add_f64_e32 v[56:57], v[141:142], v[56:57]
	v_add_f64_e32 v[58:59], v[135:136], v[58:59]
	;; [unrolled: 1-line block ×3, first 2 shown]
	v_add_f64_e64 v[92:93], v[92:93], -v[199:200]
	v_add_f64_e32 v[34:35], v[38:39], v[34:35]
	v_mul_f64_e32 v[38:39], s[16:17], v[107:108]
	v_add_f64_e32 v[70:71], v[121:122], v[70:71]
	v_add_f64_e32 v[32:33], v[36:37], v[32:33]
	v_mul_f64_e32 v[36:37], s[16:17], v[105:106]
	v_add_f64_e32 v[42:43], v[139:140], v[42:43]
	v_add_f64_e64 v[40:41], v[40:41], -v[137:138]
	v_mul_f64_e32 v[121:122], s[6:7], v[119:120]
	v_add_f64_e32 v[68:69], v[133:134], v[68:69]
	v_add_f64_e32 v[80:81], v[125:126], v[80:81]
	;; [unrolled: 1-line block ×6, first 2 shown]
	v_mul_f64_e32 v[34:35], s[18:19], v[119:120]
	v_add_f64_e32 v[38:39], v[129:130], v[38:39]
	v_add_f64_e32 v[24:25], v[32:33], v[24:25]
	v_mul_f64_e32 v[32:33], s[18:19], v[113:114]
	v_add_f64_e64 v[36:37], v[36:37], -v[127:128]
	v_add_f64_e32 v[68:69], v[115:116], v[68:69]
	v_add_f64_e32 v[56:57], v[94:95], v[56:57]
	;; [unrolled: 1-line block ×6, first 2 shown]
	v_add_f64_e64 v[32:33], v[32:33], -v[123:124]
	s_wait_loadcnt 0x1
	v_add_f64_e32 v[90:91], v[145:146], v[90:91]
	s_clause 0x1
	scratch_load_b64 v[145:146], off, off offset:16 th:TH_LOAD_LU
	scratch_load_b64 v[60:61], off, off th:TH_LOAD_LU
	s_wait_loadcnt 0x2
	v_add_f64_e64 v[84:85], v[84:85], -v[117:118]
	scratch_load_b64 v[117:118], off, off offset:8 th:TH_LOAD_LU ; 8-byte Folded Reload
	v_add_f64_e32 v[84:85], v[4:5], v[84:85]
	s_delay_alu instid0(VALU_DEP_1) | instskip(SKIP_1) | instid1(VALU_DEP_1)
	v_add_f64_e32 v[74:75], v[143:144], v[84:85]
	v_mul_f64_e32 v[84:85], s[10:11], v[105:106]
	v_add_f64_e64 v[84:85], v[84:85], -v[149:150]
	s_wait_loadcnt 0x2
	v_add_f64_e64 v[88:89], v[88:89], -v[145:146]
	s_wait_loadcnt 0x1
	v_add_f64_e64 v[60:61], v[72:73], -v[60:61]
	v_mul_f64_e32 v[72:73], s[10:11], v[98:99]
	v_mul_f64_e32 v[98:99], s[6:7], v[98:99]
	;; [unrolled: 1-line block ×3, first 2 shown]
	s_delay_alu instid0(VALU_DEP_4) | instskip(NEXT) | instid1(VALU_DEP_4)
	v_add_f64_e32 v[4:5], v[4:5], v[60:61]
	v_add_f64_e32 v[72:73], v[157:158], v[72:73]
	scratch_load_b64 v[157:158], off, off offset:32 th:TH_LOAD_LU ; 8-byte Folded Reload
	v_mul_f64_e32 v[60:61], s[16:17], v[100:101]
	v_mul_f64_e32 v[100:101], s[18:19], v[100:101]
	v_add_f64_e32 v[98:99], v[179:180], v[98:99]
	v_add_f64_e64 v[143:144], v[145:146], -v[187:188]
	s_wait_loadcnt 0x1
	v_add_f64_e32 v[82:83], v[117:118], v[82:83]
	v_mul_f64_e32 v[117:118], s[18:19], v[96:97]
	v_mul_f64_e32 v[96:97], s[6:7], v[96:97]
	v_add_f64_e32 v[4:5], v[88:89], v[4:5]
	v_mul_f64_e32 v[88:89], s[6:7], v[105:106]
	v_mul_f64_e32 v[105:106], s[0:1], v[105:106]
	v_add_f64_e64 v[60:61], v[60:61], -v[147:148]
	v_add_f64_e64 v[100:101], v[100:101], -v[189:190]
	v_add_f64_e32 v[48:49], v[98:99], v[48:49]
	v_mul_f64_e32 v[98:99], s[16:17], v[119:120]
	v_add_f64_e32 v[6:7], v[6:7], v[82:83]
	v_mul_f64_e32 v[82:83], s[16:17], v[102:103]
	v_mul_f64_e32 v[102:103], s[18:19], v[102:103]
	v_add_f64_e64 v[96:97], v[96:97], -v[175:176]
	v_add_f64_e64 v[117:118], v[117:118], -v[163:164]
	;; [unrolled: 1-line block ×4, first 2 shown]
	v_add_f64_e32 v[6:7], v[90:91], v[6:7]
	v_mul_f64_e32 v[90:91], s[6:7], v[107:108]
	v_mul_f64_e32 v[107:108], s[0:1], v[107:108]
	v_add_f64_e32 v[102:103], v[195:196], v[102:103]
	v_add_f64_e32 v[82:83], v[173:174], v[82:83]
	;; [unrolled: 1-line block ×4, first 2 shown]
	v_mul_f64_e32 v[96:97], s[16:17], v[113:114]
	v_mul_f64_e32 v[117:118], s[6:7], v[113:114]
	v_add_f64_e32 v[6:7], v[72:73], v[6:7]
	v_mul_f64_e32 v[72:73], s[0:1], v[119:120]
	v_mul_f64_e32 v[119:120], s[14:15], v[119:120]
	v_add_f64_e32 v[107:108], v[207:208], v[107:108]
	v_add_f64_e32 v[48:49], v[102:103], v[48:49]
	;; [unrolled: 1-line block ×8, first 2 shown]
	v_add_f64_e64 v[82:83], v[96:97], -v[209:210]
	v_add_f64_e32 v[6:7], v[42:43], v[6:7]
	v_add_f64_e32 v[72:73], v[221:222], v[72:73]
	;; [unrolled: 1-line block ×3, first 2 shown]
	v_add_f64_e64 v[42:43], v[117:118], -v[213:214]
	v_add_f64_e32 v[48:49], v[107:108], v[48:49]
	v_add_f64_e32 v[50:51], v[105:106], v[50:51]
	;; [unrolled: 1-line block ×16, first 2 shown]
	s_wait_loadcnt 0x0
	v_add_f64_e64 v[62:63], v[62:63], -v[157:158]
	s_delay_alu instid0(VALU_DEP_1) | instskip(SKIP_2) | instid1(VALU_DEP_3)
	v_add_f64_e32 v[4:5], v[62:63], v[4:5]
	v_mul_f64_e32 v[62:63], s[0:1], v[113:114]
	v_mul_f64_e32 v[113:114], s[14:15], v[113:114]
	v_add_f64_e32 v[4:5], v[40:41], v[4:5]
	s_delay_alu instid0(VALU_DEP_3) | instskip(NEXT) | instid1(VALU_DEP_3)
	v_add_f64_e64 v[62:63], v[62:63], -v[215:216]
	v_add_f64_e64 v[26:27], v[113:114], -v[219:220]
	v_add_f64_e32 v[40:41], v[217:218], v[121:122]
	s_delay_alu instid0(VALU_DEP_4) | instskip(NEXT) | instid1(VALU_DEP_4)
	v_add_f64_e32 v[36:37], v[36:37], v[4:5]
	v_add_f64_e32 v[24:25], v[62:63], v[60:61]
	s_delay_alu instid0(VALU_DEP_4) | instskip(SKIP_4) | instid1(VALU_DEP_1)
	v_add_f64_e32 v[4:5], v[26:27], v[50:51]
	v_add_f64_e32 v[26:27], v[72:73], v[70:71]
	;; [unrolled: 1-line block ×4, first 2 shown]
	v_and_b32_e32 v36, 0xffff, v227
	v_lshlrev_b32_e32 v36, 4, v36
	ds_store_b128 v36, v[76:79] offset:96
	ds_store_b128 v36, v[64:67] offset:112
	;; [unrolled: 1-line block ×10, first 2 shown]
	ds_store_b128 v36, v[12:15]
	ds_store_b128 v36, v[32:35] offset:16
	ds_store_b128 v36, v[0:3] offset:192
.LBB0_7:
	s_wait_alu 0xfffe
	s_or_b32 exec_lo, exec_lo, s20
	v_add_co_u32 v56, null, 0x75, v226
	v_and_b32_e32 v63, 0xff, v226
	s_load_b128 s[0:3], s[2:3], 0x0
	global_wb scope:SCOPE_SE
	s_wait_dscnt 0x0
	v_and_b32_e32 v4, 0xff, v56
	s_wait_kmcnt 0x0
	s_barrier_signal -1
	v_mul_lo_u16 v5, 0x4f, v63
	s_barrier_wait -1
	global_inv scope:SCOPE_SE
	v_mul_lo_u16 v4, 0x4f, v4
	v_and_b32_e32 v24, 0xffff, v226
	v_lshrrev_b16 v90, 10, v5
	s_mov_b32 s6, 0xe8584caa
	s_mov_b32 s7, 0x3febb67a
	v_lshrrev_b16 v91, 10, v4
	v_lshlrev_b32_e32 v111, 4, v24
	v_mul_lo_u16 v4, v90, 13
	s_mov_b32 s11, 0xbfebb67a
	s_wait_alu 0xfffe
	s_mov_b32 s10, s6
	v_mul_lo_u16 v5, v91, 13
	v_sub_nc_u16 v4, v226, v4
	s_delay_alu instid0(VALU_DEP_2) | instskip(NEXT) | instid1(VALU_DEP_2)
	v_sub_nc_u16 v5, v56, v5
	v_and_b32_e32 v92, 0xff, v4
	s_delay_alu instid0(VALU_DEP_2) | instskip(NEXT) | instid1(VALU_DEP_2)
	v_and_b32_e32 v93, 0xff, v5
	v_lshlrev_b32_e32 v4, 5, v92
	s_delay_alu instid0(VALU_DEP_2)
	v_lshlrev_b32_e32 v12, 5, v93
	s_clause 0x3
	global_load_b128 v[8:11], v4, s[4:5]
	global_load_b128 v[4:7], v4, s[4:5] offset:16
	global_load_b128 v[16:19], v12, s[4:5]
	global_load_b128 v[12:15], v12, s[4:5] offset:16
	ds_load_b128 v[24:27], v111 offset:3744
	ds_load_b128 v[32:35], v111 offset:7488
	;; [unrolled: 1-line block ×4, first 2 shown]
	s_wait_loadcnt_dscnt 0x303
	v_mul_f64_e32 v[48:49], v[26:27], v[10:11]
	s_wait_loadcnt_dscnt 0x202
	v_mul_f64_e32 v[50:51], v[34:35], v[6:7]
	v_mul_f64_e32 v[57:58], v[24:25], v[10:11]
	;; [unrolled: 1-line block ×3, first 2 shown]
	s_wait_loadcnt_dscnt 0x101
	v_mul_f64_e32 v[61:62], v[38:39], v[18:19]
	s_wait_loadcnt_dscnt 0x0
	v_mul_f64_e32 v[68:69], v[42:43], v[14:15]
	v_mul_f64_e32 v[70:71], v[36:37], v[18:19]
	;; [unrolled: 1-line block ×3, first 2 shown]
	v_fma_f64 v[48:49], v[24:25], v[8:9], -v[48:49]
	v_fma_f64 v[50:51], v[32:33], v[4:5], -v[50:51]
	v_fma_f64 v[57:58], v[26:27], v[8:9], v[57:58]
	v_fma_f64 v[59:60], v[34:35], v[4:5], v[59:60]
	v_fma_f64 v[36:37], v[36:37], v[16:17], -v[61:62]
	v_fma_f64 v[40:41], v[40:41], v[12:13], -v[68:69]
	v_fma_f64 v[38:39], v[38:39], v[16:17], v[70:71]
	v_fma_f64 v[42:43], v[42:43], v[12:13], v[72:73]
	ds_load_b128 v[24:27], v111
	ds_load_b128 v[32:35], v111 offset:1872
	global_wb scope:SCOPE_SE
	s_wait_dscnt 0x0
	s_barrier_signal -1
	s_barrier_wait -1
	global_inv scope:SCOPE_SE
	v_add_f64_e32 v[74:75], v[24:25], v[48:49]
	v_add_f64_e32 v[61:62], v[48:49], v[50:51]
	v_add_f64_e64 v[48:49], v[48:49], -v[50:51]
	v_add_f64_e32 v[68:69], v[57:58], v[59:60]
	v_add_f64_e64 v[80:81], v[57:58], -v[59:60]
	v_add_f64_e32 v[70:71], v[36:37], v[40:41]
	v_add_f64_e32 v[57:58], v[26:27], v[57:58]
	;; [unrolled: 1-line block ×5, first 2 shown]
	v_add_f64_e64 v[86:87], v[38:39], -v[42:43]
	v_add_f64_e64 v[88:89], v[36:37], -v[40:41]
	v_fma_f64 v[61:62], v[61:62], -0.5, v[24:25]
	v_mul_lo_u16 v24, 0xa5, v63
	v_fma_f64 v[68:69], v[68:69], -0.5, v[26:27]
	v_fma_f64 v[70:71], v[70:71], -0.5, v[32:33]
	v_add_f64_e32 v[26:27], v[57:58], v[59:60]
	v_fma_f64 v[72:73], v[72:73], -0.5, v[34:35]
	v_lshrrev_b16 v63, 8, v24
	v_add_f64_e32 v[32:33], v[82:83], v[40:41]
	v_add_f64_e32 v[34:35], v[84:85], v[42:43]
	s_delay_alu instid0(VALU_DEP_3) | instskip(NEXT) | instid1(VALU_DEP_1)
	v_sub_nc_u16 v24, v226, v63
	v_lshrrev_b16 v24, 1, v24
	s_delay_alu instid0(VALU_DEP_1)
	v_and_b32_e32 v94, 0x7f, v24
	v_add_f64_e32 v[24:25], v[74:75], v[50:51]
	v_fma_f64 v[36:37], v[80:81], s[6:7], v[61:62]
	s_wait_alu 0xfffe
	v_fma_f64 v[40:41], v[80:81], s[10:11], v[61:62]
	v_add_nc_u16 v61, v94, v63
	v_fma_f64 v[38:39], v[48:49], s[10:11], v[68:69]
	v_fma_f64 v[42:43], v[48:49], s[6:7], v[68:69]
	;; [unrolled: 1-line block ×6, first 2 shown]
	v_lshrrev_b16 v61, 5, v61
	v_and_b32_e32 v62, 0xffff, v91
	s_delay_alu instid0(VALU_DEP_2) | instskip(SKIP_1) | instid1(VALU_DEP_3)
	v_and_b32_e32 v63, 7, v61
	v_and_b32_e32 v61, 0xffff, v90
	v_mul_u32_u24_e32 v62, 39, v62
	s_delay_alu instid0(VALU_DEP_3) | instskip(NEXT) | instid1(VALU_DEP_3)
	v_mul_lo_u16 v68, v63, 39
	v_mul_u32_u24_e32 v61, 39, v61
	s_delay_alu instid0(VALU_DEP_3) | instskip(NEXT) | instid1(VALU_DEP_3)
	v_add_lshl_u32 v112, v62, v93, 4
	v_sub_nc_u16 v68, v226, v68
	s_delay_alu instid0(VALU_DEP_3)
	v_add_lshl_u32 v113, v61, v92, 4
	ds_store_b128 v113, v[24:27]
	ds_store_b128 v113, v[36:39] offset:208
	ds_store_b128 v113, v[40:43] offset:416
	ds_store_b128 v112, v[32:35]
	ds_store_b128 v112, v[48:51] offset:208
	ds_store_b128 v112, v[57:60] offset:416
	v_and_b32_e32 v107, 0xff, v68
	global_wb scope:SCOPE_SE
	s_wait_dscnt 0x0
	s_barrier_signal -1
	s_barrier_wait -1
	global_inv scope:SCOPE_SE
	v_mad_co_u64_u32 v[61:62], null, 0x50, v107, s[4:5]
	s_clause 0x4
	global_load_b128 v[24:27], v[61:62], off offset:448
	global_load_b128 v[48:51], v[61:62], off offset:480
	;; [unrolled: 1-line block ×5, first 2 shown]
	ds_load_b128 v[57:60], v111 offset:5616
	ds_load_b128 v[68:71], v111 offset:9360
	ds_load_b128 v[72:75], v111 offset:1872
	s_wait_loadcnt_dscnt 0x402
	v_mul_f64_e32 v[61:62], v[59:60], v[26:27]
	v_mul_f64_e32 v[80:81], v[57:58], v[26:27]
	s_wait_loadcnt_dscnt 0x301
	v_mul_f64_e32 v[82:83], v[68:69], v[50:51]
	v_mul_f64_e32 v[84:85], v[70:71], v[50:51]
	;; [unrolled: 3-line block ×3, first 2 shown]
	v_fma_f64 v[61:62], v[57:58], v[24:25], -v[61:62]
	v_fma_f64 v[80:81], v[59:60], v[24:25], v[80:81]
	v_fma_f64 v[82:83], v[70:71], v[48:49], v[82:83]
	v_fma_f64 v[84:85], v[68:69], v[48:49], -v[84:85]
	ds_load_b128 v[57:60], v111 offset:3744
	ds_load_b128 v[68:71], v111 offset:7488
	v_fma_f64 v[72:73], v[72:73], v[32:33], -v[86:87]
	v_fma_f64 v[74:75], v[74:75], v[32:33], v[88:89]
	s_wait_loadcnt_dscnt 0x101
	v_mul_f64_e32 v[90:91], v[59:60], v[42:43]
	v_mul_f64_e32 v[92:93], v[57:58], v[42:43]
	s_wait_loadcnt_dscnt 0x0
	v_mul_f64_e32 v[94:95], v[70:71], v[38:39]
	v_mul_f64_e32 v[96:97], v[68:69], v[38:39]
	v_add_f64_e32 v[86:87], v[80:81], v[82:83]
	v_add_f64_e32 v[88:89], v[61:62], v[84:85]
	v_fma_f64 v[90:91], v[57:58], v[40:41], -v[90:91]
	v_fma_f64 v[92:93], v[59:60], v[40:41], v[92:93]
	v_fma_f64 v[68:69], v[68:69], v[36:37], -v[94:95]
	v_fma_f64 v[70:71], v[70:71], v[36:37], v[96:97]
	v_add_f64_e64 v[57:58], v[80:81], -v[82:83]
	v_add_f64_e64 v[59:60], v[61:62], -v[84:85]
	v_add_f64_e32 v[61:62], v[72:73], v[61:62]
	v_fma_f64 v[86:87], v[86:87], -0.5, v[74:75]
	v_fma_f64 v[88:89], v[88:89], -0.5, v[72:73]
	v_add_f64_e32 v[72:73], v[74:75], v[80:81]
	v_add_f64_e32 v[94:95], v[90:91], v[68:69]
	;; [unrolled: 1-line block ×3, first 2 shown]
	v_add_f64_e64 v[105:106], v[92:93], -v[70:71]
	v_add_f64_e64 v[74:75], v[90:91], -v[68:69]
	v_add_f64_e32 v[61:62], v[61:62], v[84:85]
	v_fma_f64 v[98:99], v[59:60], s[10:11], v[86:87]
	v_fma_f64 v[100:101], v[57:58], s[10:11], v[88:89]
	v_fma_f64 v[88:89], v[57:58], s[6:7], v[88:89]
	v_fma_f64 v[86:87], v[59:60], s[6:7], v[86:87]
	ds_load_b128 v[57:60], v111
	v_add_f64_e32 v[72:73], v[72:73], v[82:83]
	global_wb scope:SCOPE_SE
	s_wait_dscnt 0x0
	s_barrier_signal -1
	s_barrier_wait -1
	global_inv scope:SCOPE_SE
	v_add_f64_e32 v[102:103], v[57:58], v[90:91]
	v_add_f64_e32 v[92:93], v[59:60], v[92:93]
	v_fma_f64 v[57:58], v[94:95], -0.5, v[57:58]
	v_fma_f64 v[59:60], v[96:97], -0.5, v[59:60]
	v_mul_f64_e32 v[80:81], s[6:7], v[98:99]
	v_mul_f64_e32 v[90:91], -0.5, v[100:101]
	v_mul_f64_e32 v[94:95], s[10:11], v[88:89]
	v_mul_f64_e32 v[96:97], -0.5, v[86:87]
	v_add_f64_e32 v[68:69], v[102:103], v[68:69]
	v_add_f64_e32 v[70:71], v[92:93], v[70:71]
	v_fma_f64 v[84:85], v[105:106], s[6:7], v[57:58]
	v_fma_f64 v[102:103], v[74:75], s[10:11], v[59:60]
	;; [unrolled: 1-line block ×4, first 2 shown]
	v_fma_f64 v[88:89], v[88:89], 0.5, v[80:81]
	v_fma_f64 v[86:87], v[86:87], s[6:7], v[90:91]
	v_fma_f64 v[90:91], v[98:99], 0.5, v[94:95]
	v_fma_f64 v[94:95], v[100:101], s[10:11], v[96:97]
	v_add_f64_e32 v[57:58], v[68:69], v[61:62]
	v_add_f64_e32 v[59:60], v[70:71], v[72:73]
	v_add_f64_e64 v[70:71], v[70:71], -v[72:73]
	v_add_f64_e64 v[68:69], v[68:69], -v[61:62]
	v_and_b32_e32 v61, 0xffff, v63
	s_delay_alu instid0(VALU_DEP_1)
	v_mul_u32_u24_e32 v61, 0xea, v61
	v_add_f64_e32 v[72:73], v[84:85], v[88:89]
	v_add_f64_e32 v[80:81], v[92:93], v[86:87]
	;; [unrolled: 1-line block ×4, first 2 shown]
	v_add_f64_e64 v[84:85], v[84:85], -v[88:89]
	v_add_f64_e64 v[88:89], v[92:93], -v[86:87]
	;; [unrolled: 1-line block ×4, first 2 shown]
	v_lshlrev_b32_e32 v92, 5, v226
	v_add_lshl_u32 v114, v61, v107, 4
	v_lshlrev_b32_e32 v93, 5, v56
	ds_store_b128 v114, v[57:60]
	ds_store_b128 v114, v[72:75] offset:624
	ds_store_b128 v114, v[80:83] offset:1248
	;; [unrolled: 1-line block ×5, first 2 shown]
	global_wb scope:SCOPE_SE
	s_wait_dscnt 0x0
	s_barrier_signal -1
	s_barrier_wait -1
	global_inv scope:SCOPE_SE
	s_clause 0x3
	global_load_b128 v[60:63], v92, s[4:5] offset:3536
	global_load_b128 v[56:59], v92, s[4:5] offset:3552
	;; [unrolled: 1-line block ×4, first 2 shown]
	ds_load_b128 v[80:83], v111 offset:3744
	ds_load_b128 v[84:87], v111 offset:7488
	;; [unrolled: 1-line block ×4, first 2 shown]
	s_wait_loadcnt_dscnt 0x303
	v_mul_f64_e32 v[96:97], v[82:83], v[62:63]
	v_mul_f64_e32 v[98:99], v[80:81], v[62:63]
	s_wait_loadcnt_dscnt 0x202
	v_mul_f64_e32 v[100:101], v[86:87], v[58:59]
	v_mul_f64_e32 v[102:103], v[84:85], v[58:59]
	;; [unrolled: 3-line block ×4, first 2 shown]
	v_fma_f64 v[96:97], v[80:81], v[60:61], -v[96:97]
	v_fma_f64 v[98:99], v[82:83], v[60:61], v[98:99]
	v_fma_f64 v[100:101], v[84:85], v[56:57], -v[100:101]
	v_fma_f64 v[102:103], v[86:87], v[56:57], v[102:103]
	;; [unrolled: 2-line block ×4, first 2 shown]
	ds_load_b128 v[80:83], v111
	ds_load_b128 v[84:87], v111 offset:1872
	s_wait_dscnt 0x1
	v_add_f64_e32 v[117:118], v[80:81], v[96:97]
	v_add_f64_e32 v[105:106], v[96:97], v[100:101]
	;; [unrolled: 1-line block ×3, first 2 shown]
	v_add_f64_e64 v[119:120], v[98:99], -v[102:103]
	v_add_f64_e32 v[98:99], v[82:83], v[98:99]
	v_add_f64_e32 v[109:110], v[88:89], v[92:93]
	;; [unrolled: 1-line block ×3, first 2 shown]
	v_add_f64_e64 v[96:97], v[96:97], -v[100:101]
	s_wait_dscnt 0x0
	v_add_f64_e32 v[121:122], v[84:85], v[88:89]
	v_add_f64_e32 v[123:124], v[86:87], v[90:91]
	v_add_f64_e64 v[125:126], v[90:91], -v[94:95]
	v_fma_f64 v[105:106], v[105:106], -0.5, v[80:81]
	v_fma_f64 v[90:91], v[107:108], -0.5, v[82:83]
	v_add_f64_e64 v[107:108], v[88:89], -v[92:93]
	v_add_f64_e32 v[80:81], v[117:118], v[100:101]
	v_fma_f64 v[109:110], v[109:110], -0.5, v[84:85]
	v_fma_f64 v[115:116], v[115:116], -0.5, v[86:87]
	v_add_f64_e32 v[82:83], v[98:99], v[102:103]
	v_add_f64_e32 v[92:93], v[121:122], v[92:93]
	;; [unrolled: 1-line block ×3, first 2 shown]
	v_fma_f64 v[84:85], v[119:120], s[6:7], v[105:106]
	v_fma_f64 v[88:89], v[119:120], s[10:11], v[105:106]
	;; [unrolled: 1-line block ×8, first 2 shown]
	ds_store_b128 v111, v[80:83]
	ds_store_b128 v111, v[92:95] offset:1872
	ds_store_b128 v111, v[84:87] offset:3744
	;; [unrolled: 1-line block ×5, first 2 shown]
	global_wb scope:SCOPE_SE
	s_wait_dscnt 0x0
	s_barrier_signal -1
	s_barrier_wait -1
	global_inv scope:SCOPE_SE
	s_and_saveexec_b32 s6, vcc_lo
	s_cbranch_execz .LBB0_9
; %bb.8:
	global_load_b128 v[105:108], v225, s[8:9] offset:11232
	s_add_nc_u64 s[4:5], s[8:9], 0x2be0
	s_clause 0xb
	global_load_b128 v[115:118], v225, s[4:5] offset:864
	global_load_b128 v[119:122], v225, s[4:5] offset:1728
	;; [unrolled: 1-line block ×12, first 2 shown]
	ds_load_b128 v[163:166], v111
	s_wait_loadcnt_dscnt 0xc00
	v_mul_f64_e32 v[109:110], v[165:166], v[107:108]
	v_mul_f64_e32 v[167:168], v[163:164], v[107:108]
	s_delay_alu instid0(VALU_DEP_2) | instskip(NEXT) | instid1(VALU_DEP_2)
	v_fma_f64 v[107:108], v[163:164], v[105:106], -v[109:110]
	v_fma_f64 v[109:110], v[165:166], v[105:106], v[167:168]
	ds_store_b128 v111, v[107:110]
	ds_load_b128 v[105:108], v225 offset:864
	ds_load_b128 v[163:166], v225 offset:1728
	;; [unrolled: 1-line block ×12, first 2 shown]
	s_wait_loadcnt_dscnt 0xb0b
	v_mul_f64_e32 v[109:110], v[107:108], v[117:118]
	v_mul_f64_e32 v[117:118], v[105:106], v[117:118]
	s_wait_loadcnt_dscnt 0xa0a
	v_mul_f64_e32 v[207:208], v[165:166], v[121:122]
	v_mul_f64_e32 v[121:122], v[163:164], v[121:122]
	;; [unrolled: 3-line block ×12, first 2 shown]
	v_fma_f64 v[105:106], v[105:106], v[115:116], -v[109:110]
	v_fma_f64 v[107:108], v[107:108], v[115:116], v[117:118]
	v_fma_f64 v[115:116], v[163:164], v[119:120], -v[207:208]
	v_fma_f64 v[117:118], v[165:166], v[119:120], v[121:122]
	;; [unrolled: 2-line block ×12, first 2 shown]
	ds_store_b128 v225, v[105:108] offset:864
	ds_store_b128 v225, v[115:118] offset:1728
	ds_store_b128 v225, v[119:122] offset:2592
	ds_store_b128 v225, v[123:126] offset:3456
	ds_store_b128 v225, v[127:130] offset:4320
	ds_store_b128 v225, v[131:134] offset:5184
	ds_store_b128 v225, v[135:138] offset:6048
	ds_store_b128 v225, v[139:142] offset:6912
	ds_store_b128 v225, v[143:146] offset:7776
	ds_store_b128 v225, v[147:150] offset:8640
	ds_store_b128 v225, v[151:154] offset:9504
	ds_store_b128 v225, v[155:158] offset:10368
.LBB0_9:
	s_wait_alu 0xfffe
	s_or_b32 exec_lo, exec_lo, s6
	global_wb scope:SCOPE_SE
	s_wait_dscnt 0x0
	s_barrier_signal -1
	s_barrier_wait -1
	global_inv scope:SCOPE_SE
	s_and_saveexec_b32 s4, vcc_lo
	s_cbranch_execz .LBB0_11
; %bb.10:
	ds_load_b128 v[80:83], v111
	ds_load_b128 v[84:87], v111 offset:864
	ds_load_b128 v[88:91], v111 offset:1728
	ds_load_b128 v[92:95], v111 offset:2592
	ds_load_b128 v[96:99], v111 offset:3456
	ds_load_b128 v[100:103], v111 offset:4320
	ds_load_b128 v[76:79], v111 offset:5184
	ds_load_b128 v[64:67], v111 offset:6048
	ds_load_b128 v[52:55], v111 offset:6912
	ds_load_b128 v[44:47], v111 offset:7776
	ds_load_b128 v[28:31], v111 offset:8640
	ds_load_b128 v[20:23], v111 offset:9504
	ds_load_b128 v[0:3], v111 offset:10368
.LBB0_11:
	s_wait_alu 0xfffe
	s_or_b32 exec_lo, exec_lo, s4
	global_wb scope:SCOPE_SE
	s_wait_dscnt 0x0
	s_barrier_signal -1
	s_barrier_wait -1
	global_inv scope:SCOPE_SE
	s_and_saveexec_b32 s33, vcc_lo
	s_cbranch_execz .LBB0_13
; %bb.12:
	v_add_f64_e32 v[105:106], v[82:83], v[86:87]
	v_add_f64_e32 v[107:108], v[80:81], v[84:85]
	v_add_f64_e64 v[123:124], v[96:97], -v[44:45]
	v_add_f64_e64 v[125:126], v[98:99], -v[46:47]
	v_add_f64_e32 v[127:128], v[94:95], v[30:31]
	v_add_f64_e64 v[129:130], v[94:95], -v[30:31]
	v_add_f64_e32 v[131:132], v[92:93], v[28:29]
	v_add_f64_e64 v[133:134], v[88:89], -v[20:21]
	v_add_f64_e64 v[135:136], v[90:91], -v[22:23]
	v_add_f64_e32 v[137:138], v[90:91], v[22:23]
	v_add_f64_e32 v[139:140], v[88:89], v[20:21]
	s_mov_b32 s37, 0x3fddbe06
	s_mov_b32 s36, 0x4267c47c
	;; [unrolled: 1-line block ×14, first 2 shown]
	s_wait_alu 0xfffe
	s_mov_b32 s26, s34
	s_mov_b32 s24, s30
	;; [unrolled: 1-line block ×13, first 2 shown]
	v_add_f64_e32 v[105:106], v[105:106], v[90:91]
	v_add_f64_e32 v[107:108], v[107:108], v[88:89]
	s_mov_b32 s38, s6
	s_delay_alu instid0(VALU_DEP_2) | instskip(NEXT) | instid1(VALU_DEP_2)
	v_add_f64_e32 v[105:106], v[105:106], v[94:95]
	v_add_f64_e32 v[107:108], v[107:108], v[92:93]
	s_delay_alu instid0(VALU_DEP_2) | instskip(NEXT) | instid1(VALU_DEP_2)
	v_add_f64_e32 v[105:106], v[105:106], v[98:99]
	v_add_f64_e32 v[107:108], v[107:108], v[96:97]
	;; [unrolled: 3-line block ×4, first 2 shown]
	v_add_f64_e32 v[105:106], v[78:79], v[66:67]
	v_add_f64_e64 v[78:79], v[78:79], -v[66:67]
	v_add_f64_e64 v[107:108], v[76:77], -v[64:65]
	v_add_f64_e32 v[76:77], v[76:77], v[64:65]
	v_add_f64_e32 v[117:118], v[109:110], v[66:67]
	;; [unrolled: 1-line block ×3, first 2 shown]
	v_add_f64_e64 v[109:110], v[100:101], -v[52:53]
	v_add_f64_e32 v[66:67], v[100:101], v[52:53]
	v_add_f64_e32 v[64:65], v[102:103], v[54:55]
	v_add_f64_e64 v[102:103], v[102:103], -v[54:55]
	v_mul_f64_e32 v[119:120], s[36:37], v[107:108]
	v_mul_f64_e32 v[121:122], s[36:37], v[78:79]
	;; [unrolled: 1-line block ×6, first 2 shown]
	v_add_f64_e32 v[100:101], v[117:118], v[54:55]
	v_add_f64_e32 v[115:116], v[115:116], v[52:53]
	;; [unrolled: 1-line block ×4, first 2 shown]
	v_mul_f64_e32 v[88:89], s[36:37], v[109:110]
	v_mul_f64_e32 v[90:91], s[36:37], v[102:103]
	;; [unrolled: 1-line block ×4, first 2 shown]
	v_add_f64_e32 v[46:47], v[100:101], v[46:47]
	v_add_f64_e32 v[44:45], v[115:116], v[44:45]
	v_add_f64_e64 v[100:101], v[92:93], -v[28:29]
	v_mul_f64_e32 v[115:116], s[36:37], v[123:124]
	s_delay_alu instid0(VALU_DEP_4) | instskip(NEXT) | instid1(VALU_DEP_4)
	v_add_f64_e32 v[30:31], v[46:47], v[30:31]
	v_add_f64_e32 v[28:29], v[44:45], v[28:29]
	v_add_f64_e32 v[44:45], v[86:87], v[2:3]
	v_add_f64_e32 v[46:47], v[84:85], v[0:1]
	v_mul_f64_e32 v[96:97], s[36:37], v[100:101]
	v_add_f64_e32 v[22:23], v[30:31], v[22:23]
	v_add_f64_e32 v[20:21], v[28:29], v[20:21]
	v_add_f64_e64 v[28:29], v[84:85], -v[0:1]
	v_add_f64_e64 v[30:31], v[86:87], -v[2:3]
	v_mul_f64_e32 v[84:85], s[36:37], v[133:134]
	v_mul_f64_e32 v[86:87], s[36:37], v[135:136]
	s_mov_b32 s37, 0xbfddbe06
	v_add_f64_e32 v[2:3], v[22:23], v[2:3]
	v_add_f64_e32 v[0:1], v[20:21], v[0:1]
	v_mul_f64_e32 v[20:21], s[4:5], v[28:29]
	v_mul_f64_e32 v[22:23], s[6:7], v[28:29]
	;; [unrolled: 1-line block ×3, first 2 shown]
	s_wait_alu 0xfffe
	v_mul_f64_e32 v[94:95], s[24:25], v[28:29]
	v_mul_f64_e32 v[141:142], s[26:27], v[28:29]
	;; [unrolled: 1-line block ×7, first 2 shown]
	v_fma_f64 v[143:144], v[44:45], s[14:15], v[20:21]
	v_fma_f64 v[20:21], v[44:45], s[14:15], -v[20:21]
	v_fma_f64 v[145:146], v[44:45], s[16:17], v[22:23]
	v_fma_f64 v[22:23], v[44:45], s[16:17], -v[22:23]
	;; [unrolled: 2-line block ×6, first 2 shown]
	v_mul_f64_e32 v[44:45], s[4:5], v[30:31]
	v_mul_f64_e32 v[30:31], s[36:37], v[30:31]
	v_fma_f64 v[169:170], v[46:47], s[20:21], -v[159:160]
	v_fma_f64 v[159:160], v[46:47], s[20:21], v[159:160]
	v_fma_f64 v[171:172], v[46:47], s[22:23], -v[161:162]
	v_fma_f64 v[165:166], v[46:47], s[16:17], -v[155:156]
	v_fma_f64 v[155:156], v[46:47], s[16:17], v[155:156]
	v_fma_f64 v[167:168], v[46:47], s[18:19], -v[157:158]
	v_fma_f64 v[157:158], v[46:47], s[18:19], v[157:158]
	v_fma_f64 v[161:162], v[46:47], s[22:23], v[161:162]
	s_mov_b32 s37, 0x3fcea1e5
	s_mov_b32 s36, s4
	v_add_f64_e32 v[145:146], v[82:83], v[145:146]
	v_add_f64_e32 v[175:176], v[82:83], v[22:23]
	v_fma_f64 v[22:23], v[139:140], s[28:29], -v[86:87]
	v_add_f64_e32 v[177:178], v[82:83], v[92:93]
	v_fma_f64 v[86:87], v[139:140], s[28:29], v[86:87]
	v_add_f64_e32 v[92:93], v[82:83], v[94:95]
	v_add_f64_e32 v[147:148], v[82:83], v[147:148]
	;; [unrolled: 1-line block ×5, first 2 shown]
	v_fma_f64 v[163:164], v[46:47], s[14:15], -v[44:45]
	v_fma_f64 v[173:174], v[46:47], s[28:29], -v[30:31]
	v_fma_f64 v[44:45], v[46:47], s[14:15], v[44:45]
	v_fma_f64 v[30:31], v[46:47], s[28:29], v[30:31]
	v_add_f64_e32 v[46:47], v[82:83], v[143:144]
	v_add_f64_e32 v[94:95], v[80:81], v[159:160]
	;; [unrolled: 1-line block ×14, first 2 shown]
	v_fma_f64 v[20:21], v[137:138], s[28:29], v[84:85]
	v_mul_f64_e32 v[28:29], s[6:7], v[100:101]
	v_add_f64_e32 v[179:180], v[80:81], v[30:31]
	v_add_f64_e32 v[44:45], v[80:81], v[44:45]
	v_fma_f64 v[84:85], v[137:138], s[28:29], -v[84:85]
	v_add_f64_e32 v[22:23], v[22:23], v[143:144]
	v_add_f64_e32 v[20:21], v[20:21], v[46:47]
	v_fma_f64 v[30:31], v[127:128], s[16:17], v[28:29]
	v_fma_f64 v[28:29], v[127:128], s[16:17], -v[28:29]
	v_add_f64_e32 v[44:45], v[86:87], v[44:45]
	v_add_f64_e32 v[84:85], v[84:85], v[163:164]
	s_delay_alu instid0(VALU_DEP_4) | instskip(SKIP_1) | instid1(VALU_DEP_3)
	v_add_f64_e32 v[20:21], v[30:31], v[20:21]
	v_mul_f64_e32 v[30:31], s[6:7], v[129:130]
	v_add_f64_e32 v[28:29], v[28:29], v[84:85]
	v_mul_f64_e32 v[84:85], s[26:27], v[100:101]
	s_delay_alu instid0(VALU_DEP_3) | instskip(SKIP_1) | instid1(VALU_DEP_3)
	v_fma_f64 v[46:47], v[131:132], s[16:17], -v[30:31]
	v_fma_f64 v[30:31], v[131:132], s[16:17], v[30:31]
	v_fma_f64 v[86:87], v[127:128], s[22:23], v[84:85]
	v_fma_f64 v[84:85], v[127:128], s[22:23], -v[84:85]
	s_delay_alu instid0(VALU_DEP_4) | instskip(SKIP_2) | instid1(VALU_DEP_2)
	v_add_f64_e32 v[22:23], v[46:47], v[22:23]
	v_mul_f64_e32 v[46:47], s[34:35], v[123:124]
	v_add_f64_e32 v[30:31], v[30:31], v[44:45]
	v_fma_f64 v[80:81], v[52:53], s[22:23], v[46:47]
	v_fma_f64 v[44:45], v[52:53], s[22:23], -v[46:47]
	v_fma_f64 v[46:47], v[76:77], s[20:21], v[185:186]
	s_delay_alu instid0(VALU_DEP_3) | instskip(SKIP_1) | instid1(VALU_DEP_4)
	v_add_f64_e32 v[20:21], v[80:81], v[20:21]
	v_mul_f64_e32 v[80:81], s[34:35], v[125:126]
	v_add_f64_e32 v[28:29], v[44:45], v[28:29]
	s_delay_alu instid0(VALU_DEP_2) | instskip(SKIP_2) | instid1(VALU_DEP_3)
	v_fma_f64 v[82:83], v[54:55], s[22:23], -v[80:81]
	v_fma_f64 v[44:45], v[54:55], s[22:23], v[80:81]
	v_mul_f64_e32 v[80:81], s[30:31], v[133:134]
	v_add_f64_e32 v[22:23], v[82:83], v[22:23]
	v_mul_f64_e32 v[82:83], s[10:11], v[109:110]
	s_delay_alu instid0(VALU_DEP_4) | instskip(NEXT) | instid1(VALU_DEP_2)
	v_add_f64_e32 v[30:31], v[44:45], v[30:31]
	v_fma_f64 v[143:144], v[64:65], s[18:19], v[82:83]
	v_fma_f64 v[44:45], v[64:65], s[18:19], -v[82:83]
	v_mul_f64_e32 v[82:83], s[30:31], v[135:136]
	s_delay_alu instid0(VALU_DEP_3) | instskip(SKIP_1) | instid1(VALU_DEP_4)
	v_add_f64_e32 v[20:21], v[143:144], v[20:21]
	v_mul_f64_e32 v[143:144], s[10:11], v[102:103]
	v_add_f64_e32 v[28:29], v[44:45], v[28:29]
	s_delay_alu instid0(VALU_DEP_2) | instskip(SKIP_1) | instid1(VALU_DEP_2)
	v_fma_f64 v[44:45], v[66:67], s[18:19], v[143:144]
	v_fma_f64 v[181:182], v[66:67], s[18:19], -v[143:144]
	v_add_f64_e32 v[44:45], v[44:45], v[30:31]
	v_fma_f64 v[30:31], v[105:106], s[20:21], -v[183:184]
	s_delay_alu instid0(VALU_DEP_3) | instskip(SKIP_1) | instid1(VALU_DEP_3)
	v_add_f64_e32 v[181:182], v[181:182], v[22:23]
	v_fma_f64 v[22:23], v[105:106], s[20:21], v[183:184]
	v_add_f64_e32 v[30:31], v[30:31], v[28:29]
	v_add_f64_e32 v[28:29], v[46:47], v[44:45]
	v_fma_f64 v[44:45], v[137:138], s[20:21], v[80:81]
	v_fma_f64 v[46:47], v[139:140], s[20:21], -v[82:83]
	v_fma_f64 v[80:81], v[137:138], s[20:21], -v[80:81]
	v_fma_f64 v[82:83], v[139:140], s[20:21], v[82:83]
	v_add_f64_e32 v[22:23], v[22:23], v[20:21]
	v_fma_f64 v[20:21], v[76:77], s[20:21], -v[185:186]
	v_add_f64_e32 v[44:45], v[44:45], v[145:146]
	v_add_f64_e32 v[46:47], v[46:47], v[165:166]
	;; [unrolled: 1-line block ×4, first 2 shown]
	v_mul_f64_e32 v[165:166], s[10:11], v[107:108]
	v_add_f64_e32 v[20:21], v[20:21], v[181:182]
	v_mul_f64_e32 v[181:182], s[10:11], v[78:79]
	v_mul_f64_e32 v[155:156], s[24:25], v[125:126]
	;; [unrolled: 1-line block ×4, first 2 shown]
	v_add_f64_e32 v[44:45], v[86:87], v[44:45]
	v_mul_f64_e32 v[86:87], s[26:27], v[129:130]
	v_add_f64_e32 v[80:81], v[84:85], v[80:81]
	s_delay_alu instid0(VALU_DEP_2) | instskip(SKIP_2) | instid1(VALU_DEP_3)
	v_fma_f64 v[143:144], v[131:132], s[22:23], -v[86:87]
	v_fma_f64 v[84:85], v[131:132], s[22:23], v[86:87]
	v_fma_f64 v[86:87], v[76:77], s[18:19], v[181:182]
	v_add_f64_e32 v[46:47], v[143:144], v[46:47]
	s_wait_alu 0xfffe
	v_mul_f64_e32 v[143:144], s[36:37], v[123:124]
	s_delay_alu instid0(VALU_DEP_4) | instskip(NEXT) | instid1(VALU_DEP_2)
	v_add_f64_e32 v[82:83], v[84:85], v[82:83]
	v_fma_f64 v[145:146], v[52:53], s[14:15], v[143:144]
	v_fma_f64 v[84:85], v[52:53], s[14:15], -v[143:144]
	v_mul_f64_e32 v[143:144], s[38:39], v[133:134]
	s_delay_alu instid0(VALU_DEP_3) | instskip(SKIP_1) | instid1(VALU_DEP_4)
	v_add_f64_e32 v[44:45], v[145:146], v[44:45]
	v_mul_f64_e32 v[145:146], s[36:37], v[125:126]
	v_add_f64_e32 v[80:81], v[84:85], v[80:81]
	s_delay_alu instid0(VALU_DEP_2) | instskip(SKIP_2) | instid1(VALU_DEP_3)
	v_fma_f64 v[84:85], v[54:55], s[14:15], v[145:146]
	v_fma_f64 v[163:164], v[54:55], s[14:15], -v[145:146]
	v_mul_f64_e32 v[145:146], s[38:39], v[135:136]
	v_add_f64_e32 v[82:83], v[84:85], v[82:83]
	v_fma_f64 v[84:85], v[64:65], s[28:29], -v[88:89]
	s_delay_alu instid0(VALU_DEP_4)
	v_add_f64_e32 v[46:47], v[163:164], v[46:47]
	v_fma_f64 v[163:164], v[64:65], s[28:29], v[88:89]
	v_fma_f64 v[88:89], v[127:128], s[28:29], v[96:97]
	v_fma_f64 v[96:97], v[127:128], s[28:29], -v[96:97]
	v_add_f64_e32 v[80:81], v[84:85], v[80:81]
	v_fma_f64 v[84:85], v[66:67], s[28:29], v[90:91]
	v_add_f64_e32 v[44:45], v[163:164], v[44:45]
	v_fma_f64 v[163:164], v[66:67], s[28:29], -v[90:91]
	s_delay_alu instid0(VALU_DEP_3) | instskip(SKIP_1) | instid1(VALU_DEP_3)
	v_add_f64_e32 v[84:85], v[84:85], v[82:83]
	v_fma_f64 v[82:83], v[105:106], s[18:19], -v[165:166]
	v_add_f64_e32 v[163:164], v[163:164], v[46:47]
	v_fma_f64 v[46:47], v[105:106], s[18:19], v[165:166]
	v_mul_f64_e32 v[165:166], s[36:37], v[102:103]
	s_delay_alu instid0(VALU_DEP_4)
	v_add_f64_e32 v[82:83], v[82:83], v[80:81]
	v_add_f64_e32 v[80:81], v[86:87], v[84:85]
	v_fma_f64 v[84:85], v[137:138], s[16:17], v[143:144]
	v_fma_f64 v[86:87], v[139:140], s[16:17], -v[145:146]
	v_add_f64_e32 v[46:47], v[46:47], v[44:45]
	v_fma_f64 v[44:45], v[76:77], s[18:19], -v[181:182]
	v_mul_f64_e32 v[181:182], s[10:11], v[133:134]
	v_fma_f64 v[143:144], v[137:138], s[16:17], -v[143:144]
	v_fma_f64 v[145:146], v[139:140], s[16:17], v[145:146]
	v_add_f64_e32 v[84:85], v[84:85], v[147:148]
	v_add_f64_e32 v[86:87], v[86:87], v[167:168]
	v_mul_f64_e32 v[147:148], s[24:25], v[123:124]
	v_add_f64_e32 v[44:45], v[44:45], v[163:164]
	v_mul_f64_e32 v[163:164], s[36:37], v[109:110]
	v_mul_f64_e32 v[167:168], s[34:35], v[107:108]
	v_add_f64_e32 v[143:144], v[143:144], v[177:178]
	v_add_f64_e32 v[145:146], v[145:146], v[157:158]
	v_mul_f64_e32 v[107:108], s[4:5], v[107:108]
	v_add_f64_e32 v[84:85], v[88:89], v[84:85]
	v_fma_f64 v[88:89], v[131:132], s[28:29], -v[98:99]
	v_fma_f64 v[98:99], v[131:132], s[28:29], v[98:99]
	v_add_f64_e32 v[96:97], v[96:97], v[143:144]
	v_fma_f64 v[143:144], v[52:53], s[20:21], -v[147:148]
	s_delay_alu instid0(VALU_DEP_4)
	v_add_f64_e32 v[86:87], v[88:89], v[86:87]
	v_fma_f64 v[88:89], v[52:53], s[20:21], v[147:148]
	v_add_f64_e32 v[98:99], v[98:99], v[145:146]
	v_fma_f64 v[145:146], v[76:77], s[22:23], v[175:176]
	;; [unrolled: 2-line block ×3, first 2 shown]
	v_add_f64_e32 v[84:85], v[88:89], v[84:85]
	v_fma_f64 v[88:89], v[54:55], s[20:21], -v[155:156]
	s_delay_alu instid0(VALU_DEP_3) | instskip(SKIP_1) | instid1(VALU_DEP_3)
	v_add_f64_e32 v[98:99], v[143:144], v[98:99]
	v_fma_f64 v[143:144], v[64:65], s[14:15], -v[163:164]
	v_add_f64_e32 v[86:87], v[88:89], v[86:87]
	v_fma_f64 v[88:89], v[64:65], s[14:15], v[163:164]
	s_delay_alu instid0(VALU_DEP_3) | instskip(SKIP_1) | instid1(VALU_DEP_3)
	v_add_f64_e32 v[96:97], v[143:144], v[96:97]
	v_fma_f64 v[143:144], v[66:67], s[14:15], v[165:166]
	v_add_f64_e32 v[84:85], v[88:89], v[84:85]
	v_fma_f64 v[88:89], v[66:67], s[14:15], -v[165:166]
	s_delay_alu instid0(VALU_DEP_3) | instskip(SKIP_1) | instid1(VALU_DEP_3)
	v_add_f64_e32 v[143:144], v[143:144], v[98:99]
	v_fma_f64 v[98:99], v[105:106], s[22:23], -v[167:168]
	v_add_f64_e32 v[88:89], v[88:89], v[86:87]
	v_fma_f64 v[86:87], v[105:106], s[22:23], v[167:168]
	s_delay_alu instid0(VALU_DEP_3) | instskip(SKIP_1) | instid1(VALU_DEP_3)
	v_add_f64_e32 v[98:99], v[98:99], v[96:97]
	v_add_f64_e32 v[96:97], v[145:146], v[143:144]
	;; [unrolled: 1-line block ×3, first 2 shown]
	v_fma_f64 v[84:85], v[76:77], s[22:23], -v[175:176]
	s_delay_alu instid0(VALU_DEP_1) | instskip(SKIP_1) | instid1(VALU_DEP_1)
	v_add_f64_e32 v[84:85], v[84:85], v[88:89]
	v_fma_f64 v[88:89], v[137:138], s[18:19], -v[181:182]
	v_add_f64_e32 v[88:89], v[88:89], v[141:142]
	v_mul_f64_e32 v[141:142], s[10:11], v[135:136]
	s_delay_alu instid0(VALU_DEP_1) | instskip(SKIP_1) | instid1(VALU_DEP_2)
	v_fma_f64 v[90:91], v[139:140], s[18:19], v[141:142]
	v_fma_f64 v[141:142], v[139:140], s[18:19], -v[141:142]
	v_add_f64_e32 v[90:91], v[90:91], v[161:162]
	v_mul_f64_e32 v[161:162], s[4:5], v[100:101]
	s_delay_alu instid0(VALU_DEP_3) | instskip(NEXT) | instid1(VALU_DEP_2)
	v_add_f64_e32 v[141:142], v[141:142], v[159:160]
	v_fma_f64 v[183:184], v[127:128], s[14:15], -v[161:162]
	s_delay_alu instid0(VALU_DEP_1) | instskip(SKIP_1) | instid1(VALU_DEP_1)
	v_add_f64_e32 v[88:89], v[183:184], v[88:89]
	v_mul_f64_e32 v[183:184], s[4:5], v[129:130]
	v_fma_f64 v[185:186], v[131:132], s[14:15], v[183:184]
	s_delay_alu instid0(VALU_DEP_1) | instskip(SKIP_2) | instid1(VALU_DEP_2)
	v_add_f64_e32 v[90:91], v[185:186], v[90:91]
	v_mul_f64_e32 v[185:186], s[38:39], v[123:124]
	v_mul_f64_e32 v[123:124], s[10:11], v[123:124]
	v_fma_f64 v[187:188], v[52:53], s[16:17], -v[185:186]
	s_delay_alu instid0(VALU_DEP_1) | instskip(SKIP_2) | instid1(VALU_DEP_2)
	v_add_f64_e32 v[88:89], v[187:188], v[88:89]
	v_mul_f64_e32 v[187:188], s[38:39], v[125:126]
	v_mul_f64_e32 v[125:126], s[10:11], v[125:126]
	v_fma_f64 v[189:190], v[54:55], s[16:17], v[187:188]
	s_delay_alu instid0(VALU_DEP_1) | instskip(SKIP_1) | instid1(VALU_DEP_1)
	v_add_f64_e32 v[90:91], v[189:190], v[90:91]
	v_mul_f64_e32 v[189:190], s[30:31], v[109:110]
	v_fma_f64 v[191:192], v[64:65], s[20:21], -v[189:190]
	s_delay_alu instid0(VALU_DEP_1) | instskip(SKIP_3) | instid1(VALU_DEP_1)
	v_add_f64_e32 v[88:89], v[191:192], v[88:89]
	v_mul_f64_e32 v[191:192], s[30:31], v[102:103]
	s_mov_b32 s31, 0x3fedeba7
	s_mov_b32 s30, s10
	v_fma_f64 v[193:194], v[66:67], s[20:21], v[191:192]
	s_delay_alu instid0(VALU_DEP_1) | instskip(SKIP_2) | instid1(VALU_DEP_2)
	v_add_f64_e32 v[193:194], v[193:194], v[90:91]
	v_fma_f64 v[90:91], v[105:106], s[28:29], -v[119:120]
	v_fma_f64 v[119:120], v[105:106], s[28:29], v[119:120]
	v_add_f64_e32 v[90:91], v[90:91], v[88:89]
	v_fma_f64 v[88:89], v[76:77], s[28:29], v[121:122]
	s_delay_alu instid0(VALU_DEP_1) | instskip(SKIP_2) | instid1(VALU_DEP_2)
	v_add_f64_e32 v[88:89], v[88:89], v[193:194]
	v_mul_f64_e32 v[193:194], s[4:5], v[133:134]
	v_mul_f64_e32 v[133:134], s[26:27], v[133:134]
	v_fma_f64 v[195:196], v[137:138], s[14:15], -v[193:194]
	v_fma_f64 v[143:144], v[137:138], s[14:15], v[193:194]
	s_delay_alu instid0(VALU_DEP_2) | instskip(SKIP_1) | instid1(VALU_DEP_3)
	v_add_f64_e32 v[92:93], v[195:196], v[92:93]
	v_mul_f64_e32 v[195:196], s[4:5], v[135:136]
	v_add_f64_e32 v[143:144], v[143:144], v[149:150]
	v_mul_f64_e32 v[135:136], s[26:27], v[135:136]
	s_delay_alu instid0(VALU_DEP_3) | instskip(SKIP_1) | instid1(VALU_DEP_2)
	v_fma_f64 v[197:198], v[139:140], s[14:15], v[195:196]
	v_fma_f64 v[145:146], v[139:140], s[14:15], -v[195:196]
	v_add_f64_e32 v[94:95], v[197:198], v[94:95]
	s_wait_alu 0xfffe
	v_mul_f64_e32 v[197:198], s[30:31], v[100:101]
	s_delay_alu instid0(VALU_DEP_3) | instskip(NEXT) | instid1(VALU_DEP_2)
	v_add_f64_e32 v[145:146], v[145:146], v[169:170]
	v_fma_f64 v[199:200], v[127:128], s[18:19], -v[197:198]
	v_fma_f64 v[147:148], v[127:128], s[18:19], v[197:198]
	s_delay_alu instid0(VALU_DEP_2) | instskip(SKIP_1) | instid1(VALU_DEP_3)
	v_add_f64_e32 v[92:93], v[199:200], v[92:93]
	v_mul_f64_e32 v[199:200], s[30:31], v[129:130]
	v_add_f64_e32 v[143:144], v[147:148], v[143:144]
	v_mul_f64_e32 v[129:130], s[24:25], v[129:130]
	s_delay_alu instid0(VALU_DEP_3) | instskip(SKIP_1) | instid1(VALU_DEP_2)
	v_fma_f64 v[201:202], v[131:132], s[18:19], v[199:200]
	v_fma_f64 v[147:148], v[131:132], s[18:19], -v[199:200]
	v_add_f64_e32 v[94:95], v[201:202], v[94:95]
	v_fma_f64 v[201:202], v[52:53], s[28:29], -v[115:116]
	v_fma_f64 v[115:116], v[52:53], s[28:29], v[115:116]
	s_delay_alu instid0(VALU_DEP_4) | instskip(NEXT) | instid1(VALU_DEP_3)
	v_add_f64_e32 v[145:146], v[147:148], v[145:146]
	v_add_f64_e32 v[92:93], v[201:202], v[92:93]
	v_fma_f64 v[201:202], v[54:55], s[28:29], v[117:118]
	s_delay_alu instid0(VALU_DEP_4) | instskip(SKIP_1) | instid1(VALU_DEP_3)
	v_add_f64_e32 v[115:116], v[115:116], v[143:144]
	v_fma_f64 v[117:118], v[54:55], s[28:29], -v[117:118]
	v_add_f64_e32 v[94:95], v[201:202], v[94:95]
	v_mul_f64_e32 v[201:202], s[26:27], v[109:110]
	s_delay_alu instid0(VALU_DEP_3) | instskip(SKIP_2) | instid1(VALU_DEP_4)
	v_add_f64_e32 v[117:118], v[117:118], v[145:146]
	v_fma_f64 v[145:146], v[76:77], s[16:17], -v[209:210]
	v_mul_f64_e32 v[109:110], s[6:7], v[109:110]
	v_fma_f64 v[203:204], v[64:65], s[22:23], -v[201:202]
	v_fma_f64 v[143:144], v[64:65], s[22:23], v[201:202]
	s_delay_alu instid0(VALU_DEP_2) | instskip(SKIP_1) | instid1(VALU_DEP_3)
	v_add_f64_e32 v[92:93], v[203:204], v[92:93]
	v_mul_f64_e32 v[203:204], s[26:27], v[102:103]
	v_add_f64_e32 v[115:116], v[143:144], v[115:116]
	s_delay_alu instid0(VALU_DEP_2) | instskip(SKIP_1) | instid1(VALU_DEP_2)
	v_fma_f64 v[143:144], v[66:67], s[22:23], -v[203:204]
	v_fma_f64 v[205:206], v[66:67], s[22:23], v[203:204]
	v_add_f64_e32 v[143:144], v[143:144], v[117:118]
	v_fma_f64 v[117:118], v[105:106], s[16:17], v[207:208]
	s_delay_alu instid0(VALU_DEP_3) | instskip(SKIP_1) | instid1(VALU_DEP_3)
	v_add_f64_e32 v[205:206], v[205:206], v[94:95]
	v_fma_f64 v[94:95], v[105:106], s[16:17], -v[207:208]
	v_add_f64_e32 v[117:118], v[117:118], v[115:116]
	v_add_f64_e32 v[115:116], v[145:146], v[143:144]
	v_fma_f64 v[143:144], v[137:138], s[18:19], v[181:182]
	v_fma_f64 v[145:146], v[127:128], s[14:15], v[161:162]
	v_add_f64_e32 v[94:95], v[94:95], v[92:93]
	v_fma_f64 v[92:93], v[76:77], s[16:17], v[209:210]
	s_delay_alu instid0(VALU_DEP_4) | instskip(NEXT) | instid1(VALU_DEP_2)
	v_add_f64_e32 v[143:144], v[143:144], v[151:152]
	v_add_f64_e32 v[92:93], v[92:93], v[205:206]
	s_delay_alu instid0(VALU_DEP_2) | instskip(SKIP_1) | instid1(VALU_DEP_1)
	v_add_f64_e32 v[143:144], v[145:146], v[143:144]
	v_fma_f64 v[145:146], v[131:132], s[14:15], -v[183:184]
	v_add_f64_e32 v[141:142], v[145:146], v[141:142]
	v_fma_f64 v[145:146], v[52:53], s[16:17], v[185:186]
	s_delay_alu instid0(VALU_DEP_1) | instskip(SKIP_1) | instid1(VALU_DEP_1)
	v_add_f64_e32 v[143:144], v[145:146], v[143:144]
	v_fma_f64 v[145:146], v[54:55], s[16:17], -v[187:188]
	v_add_f64_e32 v[141:142], v[145:146], v[141:142]
	v_fma_f64 v[145:146], v[64:65], s[20:21], v[189:190]
	s_delay_alu instid0(VALU_DEP_1) | instskip(SKIP_1) | instid1(VALU_DEP_1)
	v_add_f64_e32 v[143:144], v[145:146], v[143:144]
	v_fma_f64 v[145:146], v[66:67], s[20:21], -v[191:192]
	v_add_f64_e32 v[141:142], v[145:146], v[141:142]
	v_fma_f64 v[145:146], v[76:77], s[28:29], -v[121:122]
	s_delay_alu instid0(VALU_DEP_4) | instskip(SKIP_2) | instid1(VALU_DEP_4)
	v_add_f64_e32 v[121:122], v[119:120], v[143:144]
	v_fma_f64 v[143:144], v[139:140], s[22:23], v[135:136]
	v_fma_f64 v[135:136], v[139:140], s[22:23], -v[135:136]
	v_add_f64_e32 v[119:120], v[145:146], v[141:142]
	v_fma_f64 v[141:142], v[137:138], s[22:23], -v[133:134]
	v_mul_f64_e32 v[145:146], s[24:25], v[100:101]
	v_add_f64_e32 v[143:144], v[143:144], v[179:180]
	v_fma_f64 v[133:134], v[137:138], s[22:23], v[133:134]
	s_delay_alu instid0(VALU_DEP_4) | instskip(NEXT) | instid1(VALU_DEP_4)
	v_add_f64_e32 v[141:142], v[141:142], v[173:174]
	v_fma_f64 v[100:101], v[127:128], s[20:21], -v[145:146]
	v_fma_f64 v[127:128], v[127:128], s[20:21], v[145:146]
	s_delay_alu instid0(VALU_DEP_4) | instskip(NEXT) | instid1(VALU_DEP_3)
	v_add_f64_e32 v[133:134], v[133:134], v[153:154]
	v_add_f64_e32 v[100:101], v[100:101], v[141:142]
	v_fma_f64 v[141:142], v[131:132], s[20:21], v[129:130]
	v_fma_f64 v[129:130], v[131:132], s[20:21], -v[129:130]
	v_add_f64_e32 v[131:132], v[135:136], v[171:172]
	s_delay_alu instid0(VALU_DEP_3) | instskip(SKIP_3) | instid1(VALU_DEP_3)
	v_add_f64_e32 v[141:142], v[141:142], v[143:144]
	v_fma_f64 v[143:144], v[52:53], s[18:19], -v[123:124]
	v_fma_f64 v[52:53], v[52:53], s[18:19], v[123:124]
	v_add_f64_e32 v[123:124], v[127:128], v[133:134]
	v_add_f64_e32 v[100:101], v[143:144], v[100:101]
	v_fma_f64 v[143:144], v[54:55], s[18:19], v[125:126]
	v_fma_f64 v[54:55], v[54:55], s[18:19], -v[125:126]
	v_add_f64_e32 v[125:126], v[129:130], v[131:132]
	v_add_f64_e32 v[52:53], v[52:53], v[123:124]
	s_delay_alu instid0(VALU_DEP_4) | instskip(SKIP_3) | instid1(VALU_DEP_3)
	v_add_f64_e32 v[141:142], v[143:144], v[141:142]
	v_fma_f64 v[143:144], v[64:65], s[16:17], -v[109:110]
	v_fma_f64 v[64:65], v[64:65], s[16:17], v[109:110]
	v_add_f64_e32 v[54:55], v[54:55], v[125:126]
	v_add_f64_e32 v[100:101], v[143:144], v[100:101]
	v_mul_f64_e32 v[143:144], s[6:7], v[102:103]
	s_delay_alu instid0(VALU_DEP_4) | instskip(SKIP_1) | instid1(VALU_DEP_3)
	v_add_f64_e32 v[52:53], v[64:65], v[52:53]
	v_fma_f64 v[64:65], v[76:77], s[14:15], -v[78:79]
	v_fma_f64 v[102:103], v[66:67], s[16:17], v[143:144]
	v_fma_f64 v[66:67], v[66:67], s[16:17], -v[143:144]
	s_delay_alu instid0(VALU_DEP_2) | instskip(SKIP_2) | instid1(VALU_DEP_4)
	v_add_f64_e32 v[141:142], v[102:103], v[141:142]
	v_fma_f64 v[102:103], v[105:106], s[14:15], -v[107:108]
	v_fma_f64 v[105:106], v[105:106], s[14:15], v[107:108]
	v_add_f64_e32 v[66:67], v[66:67], v[54:55]
	s_delay_alu instid0(VALU_DEP_3) | instskip(SKIP_1) | instid1(VALU_DEP_4)
	v_add_f64_e32 v[102:103], v[102:103], v[100:101]
	v_fma_f64 v[100:101], v[76:77], s[14:15], v[78:79]
	v_add_f64_e32 v[54:55], v[105:106], v[52:53]
	s_delay_alu instid0(VALU_DEP_4) | instskip(SKIP_1) | instid1(VALU_DEP_1)
	v_add_f64_e32 v[52:53], v[64:65], v[66:67]
	v_and_b32_e32 v64, 0xffff, v227
	v_lshlrev_b32_e32 v64, 4, v64
	v_add_f64_e32 v[100:101], v[100:101], v[141:142]
	ds_store_b128 v64, v[88:91] offset:32
	ds_store_b128 v64, v[92:95] offset:48
	;; [unrolled: 1-line block ×11, first 2 shown]
	ds_store_b128 v64, v[0:3]
	ds_store_b128 v64, v[52:55] offset:192
.LBB0_13:
	s_or_b32 exec_lo, exec_lo, s33
	global_wb scope:SCOPE_SE
	s_wait_dscnt 0x0
	s_barrier_signal -1
	s_barrier_wait -1
	global_inv scope:SCOPE_SE
	ds_load_b128 v[0:3], v111 offset:3744
	ds_load_b128 v[20:23], v111 offset:7488
	;; [unrolled: 1-line block ×4, first 2 shown]
	s_mov_b32 s4, 0xe8584caa
	s_mov_b32 s5, 0xbfebb67a
	;; [unrolled: 1-line block ×3, first 2 shown]
	s_wait_alu 0xfffe
	s_mov_b32 s6, s4
	s_wait_dscnt 0x3
	v_mul_f64_e32 v[52:53], v[10:11], v[2:3]
	s_wait_dscnt 0x2
	v_mul_f64_e32 v[54:55], v[6:7], v[22:23]
	v_mul_f64_e32 v[10:11], v[10:11], v[0:1]
	;; [unrolled: 1-line block ×3, first 2 shown]
	s_wait_dscnt 0x1
	v_mul_f64_e32 v[64:65], v[18:19], v[30:31]
	s_wait_dscnt 0x0
	v_mul_f64_e32 v[66:67], v[14:15], v[46:47]
	v_mul_f64_e32 v[18:19], v[18:19], v[28:29]
	;; [unrolled: 1-line block ×3, first 2 shown]
	v_fma_f64 v[52:53], v[8:9], v[0:1], v[52:53]
	v_fma_f64 v[20:21], v[4:5], v[20:21], v[54:55]
	v_fma_f64 v[8:9], v[8:9], v[2:3], -v[10:11]
	v_fma_f64 v[10:11], v[4:5], v[22:23], -v[6:7]
	v_fma_f64 v[22:23], v[16:17], v[28:29], v[64:65]
	v_fma_f64 v[28:29], v[12:13], v[44:45], v[66:67]
	v_fma_f64 v[16:17], v[16:17], v[30:31], -v[18:19]
	v_fma_f64 v[12:13], v[12:13], v[46:47], -v[14:15]
	ds_load_b128 v[0:3], v111
	ds_load_b128 v[4:7], v111 offset:1872
	global_wb scope:SCOPE_SE
	s_wait_dscnt 0x0
	s_barrier_signal -1
	s_barrier_wait -1
	global_inv scope:SCOPE_SE
	v_add_f64_e32 v[46:47], v[0:1], v[52:53]
	v_add_f64_e32 v[14:15], v[52:53], v[20:21]
	v_add_f64_e64 v[52:53], v[52:53], -v[20:21]
	v_add_f64_e32 v[18:19], v[8:9], v[10:11]
	v_add_f64_e64 v[54:55], v[8:9], -v[10:11]
	v_add_f64_e32 v[30:31], v[22:23], v[28:29]
	v_add_f64_e32 v[8:9], v[2:3], v[8:9]
	;; [unrolled: 1-line block ×5, first 2 shown]
	v_add_f64_e64 v[76:77], v[16:17], -v[12:13]
	v_add_f64_e64 v[22:23], v[22:23], -v[28:29]
	v_fma_f64 v[14:15], v[14:15], -0.5, v[0:1]
	v_add_f64_e32 v[0:1], v[46:47], v[20:21]
	v_fma_f64 v[18:19], v[18:19], -0.5, v[2:3]
	v_fma_f64 v[30:31], v[30:31], -0.5, v[4:5]
	v_add_f64_e32 v[2:3], v[8:9], v[10:11]
	v_fma_f64 v[44:45], v[44:45], -0.5, v[6:7]
	v_add_f64_e32 v[6:7], v[66:67], v[12:13]
	v_add_f64_e32 v[4:5], v[64:65], v[28:29]
	v_fma_f64 v[8:9], v[54:55], s[4:5], v[14:15]
	s_wait_alu 0xfffe
	v_fma_f64 v[12:13], v[54:55], s[6:7], v[14:15]
	v_fma_f64 v[10:11], v[52:53], s[6:7], v[18:19]
	;; [unrolled: 1-line block ×7, first 2 shown]
	ds_store_b128 v113, v[0:3]
	ds_store_b128 v113, v[8:11] offset:208
	ds_store_b128 v113, v[12:15] offset:416
	ds_store_b128 v112, v[4:7]
	ds_store_b128 v112, v[16:19] offset:208
	ds_store_b128 v112, v[20:23] offset:416
	global_wb scope:SCOPE_SE
	s_wait_dscnt 0x0
	s_barrier_signal -1
	s_barrier_wait -1
	global_inv scope:SCOPE_SE
	ds_load_b128 v[0:3], v111 offset:5616
	ds_load_b128 v[4:7], v111 offset:9360
	;; [unrolled: 1-line block ×3, first 2 shown]
	s_wait_dscnt 0x2
	v_mul_f64_e32 v[12:13], v[26:27], v[0:1]
	s_wait_dscnt 0x1
	v_mul_f64_e32 v[14:15], v[50:51], v[4:5]
	;; [unrolled: 2-line block ×3, first 2 shown]
	v_mul_f64_e32 v[22:23], v[26:27], v[2:3]
	v_mul_f64_e32 v[26:27], v[50:51], v[6:7]
	v_fma_f64 v[28:29], v[24:25], v[2:3], -v[12:13]
	v_fma_f64 v[6:7], v[48:49], v[6:7], -v[14:15]
	ds_load_b128 v[12:15], v111 offset:3744
	ds_load_b128 v[16:19], v111 offset:7488
	v_mul_f64_e32 v[2:3], v[34:35], v[10:11]
	v_fma_f64 v[22:23], v[24:25], v[0:1], v[22:23]
	v_fma_f64 v[4:5], v[48:49], v[4:5], v[26:27]
	v_fma_f64 v[10:11], v[32:33], v[10:11], -v[20:21]
	s_wait_dscnt 0x1
	v_mul_f64_e32 v[30:31], v[42:43], v[14:15]
	v_mul_f64_e32 v[34:35], v[42:43], v[12:13]
	s_wait_dscnt 0x0
	v_mul_f64_e32 v[42:43], v[38:39], v[18:19]
	v_mul_f64_e32 v[38:39], v[38:39], v[16:17]
	v_add_f64_e32 v[0:1], v[28:29], v[6:7]
	v_fma_f64 v[8:9], v[32:33], v[8:9], v[2:3]
	v_add_f64_e32 v[2:3], v[22:23], v[4:5]
	v_add_f64_e64 v[20:21], v[22:23], -v[4:5]
	v_fma_f64 v[12:13], v[40:41], v[12:13], v[30:31]
	v_fma_f64 v[14:15], v[40:41], v[14:15], -v[34:35]
	v_fma_f64 v[16:17], v[36:37], v[16:17], v[42:43]
	v_fma_f64 v[18:19], v[36:37], v[18:19], -v[38:39]
	v_add_f64_e64 v[30:31], v[28:29], -v[6:7]
	v_fma_f64 v[0:1], v[0:1], -0.5, v[10:11]
	v_add_f64_e32 v[10:11], v[10:11], v[28:29]
	v_fma_f64 v[32:33], v[2:3], -0.5, v[8:9]
	v_add_f64_e32 v[8:9], v[8:9], v[22:23]
	v_add_f64_e32 v[24:25], v[12:13], v[16:17]
	;; [unrolled: 1-line block ×3, first 2 shown]
	v_add_f64_e64 v[38:39], v[14:15], -v[18:19]
	v_fma_f64 v[34:35], v[20:21], s[6:7], v[0:1]
	v_fma_f64 v[20:21], v[20:21], s[4:5], v[0:1]
	ds_load_b128 v[0:3], v111
	v_add_f64_e32 v[6:7], v[10:11], v[6:7]
	v_fma_f64 v[22:23], v[30:31], s[4:5], v[32:33]
	v_add_f64_e32 v[4:5], v[8:9], v[4:5]
	global_wb scope:SCOPE_SE
	s_wait_dscnt 0x0
	s_barrier_signal -1
	s_barrier_wait -1
	global_inv scope:SCOPE_SE
	v_add_f64_e32 v[36:37], v[0:1], v[12:13]
	v_add_f64_e32 v[14:15], v[2:3], v[14:15]
	v_add_f64_e64 v[12:13], v[12:13], -v[16:17]
	v_fma_f64 v[0:1], v[24:25], -0.5, v[0:1]
	v_fma_f64 v[2:3], v[26:27], -0.5, v[2:3]
	v_fma_f64 v[24:25], v[30:31], s[6:7], v[32:33]
	v_mul_f64_e32 v[26:27], s[4:5], v[34:35]
	v_mul_f64_e32 v[30:31], 0.5, v[34:35]
	v_mul_f64_e32 v[28:29], s[4:5], v[20:21]
	v_mul_f64_e32 v[20:21], -0.5, v[20:21]
	v_add_f64_e32 v[16:17], v[36:37], v[16:17]
	v_add_f64_e32 v[14:15], v[14:15], v[18:19]
	v_fma_f64 v[18:19], v[38:39], s[4:5], v[0:1]
	v_fma_f64 v[34:35], v[12:13], s[6:7], v[2:3]
	;; [unrolled: 1-line block ×4, first 2 shown]
	v_fma_f64 v[26:27], v[22:23], 0.5, v[26:27]
	v_fma_f64 v[22:23], v[22:23], s[6:7], v[30:31]
	v_fma_f64 v[28:29], v[24:25], -0.5, v[28:29]
	v_fma_f64 v[24:25], v[24:25], s[6:7], v[20:21]
	v_add_f64_e32 v[0:1], v[16:17], v[4:5]
	v_add_f64_e32 v[2:3], v[14:15], v[6:7]
	v_add_f64_e64 v[6:7], v[14:15], -v[6:7]
	v_add_f64_e64 v[4:5], v[16:17], -v[4:5]
	v_add_f64_e32 v[8:9], v[18:19], v[26:27]
	v_add_f64_e32 v[10:11], v[34:35], v[22:23]
	;; [unrolled: 1-line block ×4, first 2 shown]
	v_add_f64_e64 v[16:17], v[18:19], -v[26:27]
	v_add_f64_e64 v[18:19], v[34:35], -v[22:23]
	;; [unrolled: 1-line block ×4, first 2 shown]
	ds_store_b128 v114, v[0:3]
	ds_store_b128 v114, v[8:11] offset:624
	ds_store_b128 v114, v[12:15] offset:1248
	;; [unrolled: 1-line block ×5, first 2 shown]
	global_wb scope:SCOPE_SE
	s_wait_dscnt 0x0
	s_barrier_signal -1
	s_barrier_wait -1
	global_inv scope:SCOPE_SE
	ds_load_b128 v[0:3], v111 offset:3744
	ds_load_b128 v[4:7], v111 offset:7488
	;; [unrolled: 1-line block ×4, first 2 shown]
	s_wait_dscnt 0x3
	v_mul_f64_e32 v[16:17], v[62:63], v[2:3]
	v_mul_f64_e32 v[18:19], v[62:63], v[0:1]
	s_wait_dscnt 0x2
	v_mul_f64_e32 v[20:21], v[58:59], v[6:7]
	v_mul_f64_e32 v[22:23], v[58:59], v[4:5]
	;; [unrolled: 3-line block ×4, first 2 shown]
	v_fma_f64 v[16:17], v[60:61], v[0:1], v[16:17]
	v_fma_f64 v[18:19], v[60:61], v[2:3], -v[18:19]
	v_fma_f64 v[20:21], v[56:57], v[4:5], v[20:21]
	v_fma_f64 v[22:23], v[56:57], v[6:7], -v[22:23]
	;; [unrolled: 2-line block ×4, first 2 shown]
	ds_load_b128 v[0:3], v111
	ds_load_b128 v[4:7], v111 offset:1872
	s_wait_dscnt 0x1
	v_add_f64_e32 v[32:33], v[0:1], v[16:17]
	v_add_f64_e32 v[24:25], v[16:17], v[20:21]
	v_add_f64_e32 v[26:27], v[18:19], v[22:23]
	v_add_f64_e64 v[34:35], v[18:19], -v[22:23]
	v_add_f64_e32 v[18:19], v[2:3], v[18:19]
	v_add_f64_e32 v[28:29], v[8:9], v[12:13]
	;; [unrolled: 1-line block ×3, first 2 shown]
	s_wait_dscnt 0x0
	v_add_f64_e32 v[36:37], v[4:5], v[8:9]
	v_add_f64_e32 v[38:39], v[6:7], v[10:11]
	v_add_f64_e64 v[16:17], v[16:17], -v[20:21]
	v_add_f64_e64 v[40:41], v[10:11], -v[14:15]
	;; [unrolled: 1-line block ×3, first 2 shown]
	v_fma_f64 v[24:25], v[24:25], -0.5, v[0:1]
	v_fma_f64 v[26:27], v[26:27], -0.5, v[2:3]
	v_add_f64_e32 v[0:1], v[32:33], v[20:21]
	v_add_f64_e32 v[2:3], v[18:19], v[22:23]
	v_fma_f64 v[28:29], v[28:29], -0.5, v[4:5]
	v_fma_f64 v[30:31], v[30:31], -0.5, v[6:7]
	v_add_f64_e32 v[4:5], v[36:37], v[12:13]
	v_add_f64_e32 v[6:7], v[38:39], v[14:15]
	v_fma_f64 v[8:9], v[34:35], s[4:5], v[24:25]
	v_fma_f64 v[10:11], v[16:17], s[6:7], v[26:27]
	;; [unrolled: 1-line block ×8, first 2 shown]
	ds_store_b128 v111, v[0:3]
	ds_store_b128 v111, v[4:7] offset:1872
	ds_store_b128 v111, v[8:11] offset:3744
	;; [unrolled: 1-line block ×5, first 2 shown]
	global_wb scope:SCOPE_SE
	s_wait_dscnt 0x0
	s_barrier_signal -1
	s_barrier_wait -1
	global_inv scope:SCOPE_SE
	s_and_b32 exec_lo, exec_lo, vcc_lo
	s_cbranch_execz .LBB0_15
; %bb.14:
	s_clause 0xb
	global_load_b128 v[0:3], v225, s[8:9]
	global_load_b128 v[4:7], v225, s[8:9] offset:864
	global_load_b128 v[8:11], v225, s[8:9] offset:1728
	;; [unrolled: 1-line block ×11, first 2 shown]
	v_mad_co_u64_u32 v[88:89], null, s2, v104, 0
	v_mad_co_u64_u32 v[100:101], null, s0, v226, 0
	s_delay_alu instid0(VALU_DEP_2) | instskip(NEXT) | instid1(VALU_DEP_2)
	v_mov_b32_e32 v48, v89
	v_mov_b32_e32 v64, v101
	s_delay_alu instid0(VALU_DEP_2)
	v_mad_co_u64_u32 v[72:73], null, s3, v104, v[48:49]
	ds_load_b128 v[48:51], v111
	ds_load_b128 v[52:55], v225 offset:864
	ds_load_b128 v[56:59], v225 offset:1728
	;; [unrolled: 1-line block ×3, first 2 shown]
	v_mad_co_u64_u32 v[90:91], null, s1, v226, v[64:65]
	ds_load_b128 v[64:67], v225 offset:3456
	ds_load_b128 v[68:71], v225 offset:4320
	s_mul_u64 s[0:1], s[0:1], 0x360
	s_mov_b32 s2, 0xc201756d
	v_mov_b32_e32 v89, v72
	ds_load_b128 v[72:75], v225 offset:5184
	ds_load_b128 v[76:79], v225 offset:6048
	;; [unrolled: 1-line block ×4, first 2 shown]
	s_mov_b32 s3, 0x3f5756ca
	v_mov_b32_e32 v101, v90
	v_lshlrev_b64_e32 v[102:103], 4, v[88:89]
	ds_load_b128 v[88:91], v225 offset:8640
	ds_load_b128 v[92:95], v225 offset:9504
	;; [unrolled: 1-line block ×3, first 2 shown]
	v_lshlrev_b64_e32 v[100:101], 4, v[100:101]
	v_add_co_u32 v126, vcc_lo, s12, v102
	v_add_co_ci_u32_e32 v127, vcc_lo, s13, v103, vcc_lo
	s_delay_alu instid0(VALU_DEP_2) | instskip(SKIP_1) | instid1(VALU_DEP_2)
	v_add_co_u32 v100, vcc_lo, v126, v100
	s_wait_alu 0xfffd
	v_add_co_ci_u32_e32 v101, vcc_lo, v127, v101, vcc_lo
	s_wait_alu 0xfffe
	s_delay_alu instid0(VALU_DEP_2) | instskip(SKIP_1) | instid1(VALU_DEP_2)
	v_add_co_u32 v126, vcc_lo, v100, s0
	s_wait_alu 0xfffd
	v_add_co_ci_u32_e32 v127, vcc_lo, s1, v101, vcc_lo
	s_delay_alu instid0(VALU_DEP_2) | instskip(SKIP_1) | instid1(VALU_DEP_2)
	v_add_co_u32 v128, vcc_lo, v126, s0
	s_wait_alu 0xfffd
	v_add_co_ci_u32_e32 v129, vcc_lo, s1, v127, vcc_lo
	s_wait_loadcnt_dscnt 0xb0c
	v_mul_f64_e32 v[102:103], v[50:51], v[2:3]
	v_mul_f64_e32 v[2:3], v[48:49], v[2:3]
	s_wait_loadcnt_dscnt 0xa0b
	v_mul_f64_e32 v[104:105], v[54:55], v[6:7]
	v_mul_f64_e32 v[6:7], v[52:53], v[6:7]
	;; [unrolled: 3-line block ×12, first 2 shown]
	v_fma_f64 v[48:49], v[48:49], v[0:1], v[102:103]
	v_fma_f64 v[2:3], v[0:1], v[50:51], -v[2:3]
	v_fma_f64 v[50:51], v[52:53], v[4:5], v[104:105]
	v_fma_f64 v[6:7], v[4:5], v[54:55], -v[6:7]
	;; [unrolled: 2-line block ×12, first 2 shown]
	v_add_co_u32 v72, vcc_lo, v128, s0
	s_wait_alu 0xfffd
	v_add_co_ci_u32_e32 v73, vcc_lo, s1, v129, vcc_lo
	s_delay_alu instid0(VALU_DEP_2) | instskip(SKIP_1) | instid1(VALU_DEP_2)
	v_add_co_u32 v74, vcc_lo, v72, s0
	s_wait_alu 0xfffd
	v_add_co_ci_u32_e32 v75, vcc_lo, s1, v73, vcc_lo
	s_delay_alu instid0(VALU_DEP_2) | instskip(SKIP_1) | instid1(VALU_DEP_2)
	v_add_co_u32 v76, vcc_lo, v74, s0
	s_wait_alu 0xfffd
	v_add_co_ci_u32_e32 v77, vcc_lo, s1, v75, vcc_lo
	v_mul_f64_e32 v[0:1], s[2:3], v[48:49]
	v_mul_f64_e32 v[2:3], s[2:3], v[2:3]
	;; [unrolled: 1-line block ×24, first 2 shown]
	v_add_co_u32 v48, vcc_lo, v76, s0
	s_wait_alu 0xfffd
	v_add_co_ci_u32_e32 v49, vcc_lo, s1, v77, vcc_lo
	s_delay_alu instid0(VALU_DEP_2) | instskip(SKIP_1) | instid1(VALU_DEP_2)
	v_add_co_u32 v50, vcc_lo, v48, s0
	s_wait_alu 0xfffd
	v_add_co_ci_u32_e32 v51, vcc_lo, s1, v49, vcc_lo
	s_delay_alu instid0(VALU_DEP_2) | instskip(SKIP_1) | instid1(VALU_DEP_2)
	v_add_co_u32 v52, vcc_lo, v50, s0
	s_wait_alu 0xfffd
	v_add_co_ci_u32_e32 v53, vcc_lo, s1, v51, vcc_lo
	s_delay_alu instid0(VALU_DEP_2) | instskip(SKIP_1) | instid1(VALU_DEP_2)
	v_add_co_u32 v54, vcc_lo, v52, s0
	s_wait_alu 0xfffd
	v_add_co_ci_u32_e32 v55, vcc_lo, s1, v53, vcc_lo
	s_delay_alu instid0(VALU_DEP_2) | instskip(SKIP_1) | instid1(VALU_DEP_2)
	v_add_co_u32 v56, vcc_lo, v54, s0
	s_wait_alu 0xfffd
	v_add_co_ci_u32_e32 v57, vcc_lo, s1, v55, vcc_lo
	s_delay_alu instid0(VALU_DEP_2) | instskip(SKIP_1) | instid1(VALU_DEP_2)
	v_add_co_u32 v58, vcc_lo, v56, s0
	s_wait_alu 0xfffd
	v_add_co_ci_u32_e32 v59, vcc_lo, s1, v57, vcc_lo
	s_clause 0x4
	global_store_b128 v[100:101], v[0:3], off
	global_store_b128 v[126:127], v[4:7], off
	;; [unrolled: 1-line block ×12, first 2 shown]
	global_load_b128 v[0:3], v225, s[8:9] offset:10368
	s_wait_loadcnt_dscnt 0x0
	v_mul_f64_e32 v[4:5], v[98:99], v[2:3]
	v_mul_f64_e32 v[2:3], v[96:97], v[2:3]
	s_delay_alu instid0(VALU_DEP_2) | instskip(NEXT) | instid1(VALU_DEP_2)
	v_fma_f64 v[4:5], v[96:97], v[0:1], v[4:5]
	v_fma_f64 v[2:3], v[0:1], v[98:99], -v[2:3]
	s_delay_alu instid0(VALU_DEP_2) | instskip(NEXT) | instid1(VALU_DEP_2)
	v_mul_f64_e32 v[0:1], s[2:3], v[4:5]
	v_mul_f64_e32 v[2:3], s[2:3], v[2:3]
	v_add_co_u32 v4, vcc_lo, v58, s0
	s_wait_alu 0xfffd
	v_add_co_ci_u32_e32 v5, vcc_lo, s1, v59, vcc_lo
	global_store_b128 v[4:5], v[0:3], off
.LBB0_15:
	s_nop 0
	s_sendmsg sendmsg(MSG_DEALLOC_VGPRS)
	s_endpgm
	.section	.rodata,"a",@progbits
	.p2align	6, 0x0
	.amdhsa_kernel bluestein_single_fwd_len702_dim1_dp_op_CI_CI
		.amdhsa_group_segment_fixed_size 11232
		.amdhsa_private_segment_fixed_size 60
		.amdhsa_kernarg_size 104
		.amdhsa_user_sgpr_count 2
		.amdhsa_user_sgpr_dispatch_ptr 0
		.amdhsa_user_sgpr_queue_ptr 0
		.amdhsa_user_sgpr_kernarg_segment_ptr 1
		.amdhsa_user_sgpr_dispatch_id 0
		.amdhsa_user_sgpr_private_segment_size 0
		.amdhsa_wavefront_size32 1
		.amdhsa_uses_dynamic_stack 0
		.amdhsa_enable_private_segment 1
		.amdhsa_system_sgpr_workgroup_id_x 1
		.amdhsa_system_sgpr_workgroup_id_y 0
		.amdhsa_system_sgpr_workgroup_id_z 0
		.amdhsa_system_sgpr_workgroup_info 0
		.amdhsa_system_vgpr_workitem_id 0
		.amdhsa_next_free_vgpr 255
		.amdhsa_next_free_sgpr 44
		.amdhsa_reserve_vcc 1
		.amdhsa_float_round_mode_32 0
		.amdhsa_float_round_mode_16_64 0
		.amdhsa_float_denorm_mode_32 3
		.amdhsa_float_denorm_mode_16_64 3
		.amdhsa_fp16_overflow 0
		.amdhsa_workgroup_processor_mode 1
		.amdhsa_memory_ordered 1
		.amdhsa_forward_progress 0
		.amdhsa_round_robin_scheduling 0
		.amdhsa_exception_fp_ieee_invalid_op 0
		.amdhsa_exception_fp_denorm_src 0
		.amdhsa_exception_fp_ieee_div_zero 0
		.amdhsa_exception_fp_ieee_overflow 0
		.amdhsa_exception_fp_ieee_underflow 0
		.amdhsa_exception_fp_ieee_inexact 0
		.amdhsa_exception_int_div_zero 0
	.end_amdhsa_kernel
	.text
.Lfunc_end0:
	.size	bluestein_single_fwd_len702_dim1_dp_op_CI_CI, .Lfunc_end0-bluestein_single_fwd_len702_dim1_dp_op_CI_CI
                                        ; -- End function
	.section	.AMDGPU.csdata,"",@progbits
; Kernel info:
; codeLenInByte = 13312
; NumSgprs: 46
; NumVgprs: 255
; ScratchSize: 60
; MemoryBound: 0
; FloatMode: 240
; IeeeMode: 1
; LDSByteSize: 11232 bytes/workgroup (compile time only)
; SGPRBlocks: 5
; VGPRBlocks: 31
; NumSGPRsForWavesPerEU: 46
; NumVGPRsForWavesPerEU: 255
; Occupancy: 5
; WaveLimiterHint : 1
; COMPUTE_PGM_RSRC2:SCRATCH_EN: 1
; COMPUTE_PGM_RSRC2:USER_SGPR: 2
; COMPUTE_PGM_RSRC2:TRAP_HANDLER: 0
; COMPUTE_PGM_RSRC2:TGID_X_EN: 1
; COMPUTE_PGM_RSRC2:TGID_Y_EN: 0
; COMPUTE_PGM_RSRC2:TGID_Z_EN: 0
; COMPUTE_PGM_RSRC2:TIDIG_COMP_CNT: 0
	.text
	.p2alignl 7, 3214868480
	.fill 96, 4, 3214868480
	.type	__hip_cuid_d3e6c58d84f473d3,@object ; @__hip_cuid_d3e6c58d84f473d3
	.section	.bss,"aw",@nobits
	.globl	__hip_cuid_d3e6c58d84f473d3
__hip_cuid_d3e6c58d84f473d3:
	.byte	0                               ; 0x0
	.size	__hip_cuid_d3e6c58d84f473d3, 1

	.ident	"AMD clang version 19.0.0git (https://github.com/RadeonOpenCompute/llvm-project roc-6.4.0 25133 c7fe45cf4b819c5991fe208aaa96edf142730f1d)"
	.section	".note.GNU-stack","",@progbits
	.addrsig
	.addrsig_sym __hip_cuid_d3e6c58d84f473d3
	.amdgpu_metadata
---
amdhsa.kernels:
  - .args:
      - .actual_access:  read_only
        .address_space:  global
        .offset:         0
        .size:           8
        .value_kind:     global_buffer
      - .actual_access:  read_only
        .address_space:  global
        .offset:         8
        .size:           8
        .value_kind:     global_buffer
      - .actual_access:  read_only
        .address_space:  global
        .offset:         16
        .size:           8
        .value_kind:     global_buffer
      - .actual_access:  read_only
        .address_space:  global
        .offset:         24
        .size:           8
        .value_kind:     global_buffer
      - .actual_access:  read_only
        .address_space:  global
        .offset:         32
        .size:           8
        .value_kind:     global_buffer
      - .offset:         40
        .size:           8
        .value_kind:     by_value
      - .address_space:  global
        .offset:         48
        .size:           8
        .value_kind:     global_buffer
      - .address_space:  global
        .offset:         56
        .size:           8
        .value_kind:     global_buffer
      - .address_space:  global
        .offset:         64
        .size:           8
        .value_kind:     global_buffer
      - .address_space:  global
        .offset:         72
        .size:           8
        .value_kind:     global_buffer
      - .offset:         80
        .size:           4
        .value_kind:     by_value
      - .address_space:  global
        .offset:         88
        .size:           8
        .value_kind:     global_buffer
      - .address_space:  global
        .offset:         96
        .size:           8
        .value_kind:     global_buffer
    .group_segment_fixed_size: 11232
    .kernarg_segment_align: 8
    .kernarg_segment_size: 104
    .language:       OpenCL C
    .language_version:
      - 2
      - 0
    .max_flat_workgroup_size: 117
    .name:           bluestein_single_fwd_len702_dim1_dp_op_CI_CI
    .private_segment_fixed_size: 60
    .sgpr_count:     46
    .sgpr_spill_count: 0
    .symbol:         bluestein_single_fwd_len702_dim1_dp_op_CI_CI.kd
    .uniform_work_group_size: 1
    .uses_dynamic_stack: false
    .vgpr_count:     255
    .vgpr_spill_count: 14
    .wavefront_size: 32
    .workgroup_processor_mode: 1
amdhsa.target:   amdgcn-amd-amdhsa--gfx1201
amdhsa.version:
  - 1
  - 2
...

	.end_amdgpu_metadata
